;; amdgpu-corpus repo=ROCm/rocFFT kind=compiled arch=gfx1030 opt=O3
	.text
	.amdgcn_target "amdgcn-amd-amdhsa--gfx1030"
	.amdhsa_code_object_version 6
	.protected	fft_rtc_fwd_len1530_factors_17_3_6_5_wgs_102_tpt_102_halfLds_dp_op_CI_CI_unitstride_sbrr_R2C_dirReg ; -- Begin function fft_rtc_fwd_len1530_factors_17_3_6_5_wgs_102_tpt_102_halfLds_dp_op_CI_CI_unitstride_sbrr_R2C_dirReg
	.globl	fft_rtc_fwd_len1530_factors_17_3_6_5_wgs_102_tpt_102_halfLds_dp_op_CI_CI_unitstride_sbrr_R2C_dirReg
	.p2align	8
	.type	fft_rtc_fwd_len1530_factors_17_3_6_5_wgs_102_tpt_102_halfLds_dp_op_CI_CI_unitstride_sbrr_R2C_dirReg,@function
fft_rtc_fwd_len1530_factors_17_3_6_5_wgs_102_tpt_102_halfLds_dp_op_CI_CI_unitstride_sbrr_R2C_dirReg: ; @fft_rtc_fwd_len1530_factors_17_3_6_5_wgs_102_tpt_102_halfLds_dp_op_CI_CI_unitstride_sbrr_R2C_dirReg
; %bb.0:
	s_clause 0x2
	s_load_dwordx4 s[12:15], s[4:5], 0x0
	s_load_dwordx4 s[8:11], s[4:5], 0x58
	;; [unrolled: 1-line block ×3, first 2 shown]
	v_mul_u32_u24_e32 v1, 0x283, v0
	v_mov_b32_e32 v3, 0
	s_mov_b64 s[58:59], s[2:3]
	s_mov_b64 s[56:57], s[0:1]
	v_add_nc_u32_sdwa v5, s6, v1 dst_sel:DWORD dst_unused:UNUSED_PAD src0_sel:DWORD src1_sel:WORD_1
	v_mov_b32_e32 v1, 0
	v_mov_b32_e32 v6, v3
	;; [unrolled: 1-line block ×3, first 2 shown]
	s_add_u32 s56, s56, s7
	s_addc_u32 s57, s57, 0
	s_waitcnt lgkmcnt(0)
	v_cmp_lt_u64_e64 s0, s[14:15], 2
	s_and_b32 vcc_lo, exec_lo, s0
	s_cbranch_vccnz .LBB0_8
; %bb.1:
	s_load_dwordx2 s[0:1], s[4:5], 0x10
	v_mov_b32_e32 v1, 0
	v_mov_b32_e32 v2, 0
	s_add_u32 s2, s18, 8
	s_addc_u32 s3, s19, 0
	s_add_u32 s6, s16, 8
	s_addc_u32 s7, s17, 0
	v_mov_b32_e32 v77, v2
	v_mov_b32_e32 v76, v1
	s_mov_b64 s[22:23], 1
	s_waitcnt lgkmcnt(0)
	s_add_u32 s20, s0, 8
	s_addc_u32 s21, s1, 0
.LBB0_2:                                ; =>This Inner Loop Header: Depth=1
	s_load_dwordx2 s[24:25], s[20:21], 0x0
                                        ; implicit-def: $vgpr80_vgpr81
	s_mov_b32 s0, exec_lo
	s_waitcnt lgkmcnt(0)
	v_or_b32_e32 v4, s25, v6
	v_cmpx_ne_u64_e32 0, v[3:4]
	s_xor_b32 s1, exec_lo, s0
	s_cbranch_execz .LBB0_4
; %bb.3:                                ;   in Loop: Header=BB0_2 Depth=1
	v_cvt_f32_u32_e32 v4, s24
	v_cvt_f32_u32_e32 v7, s25
	s_sub_u32 s0, 0, s24
	s_subb_u32 s26, 0, s25
	v_fmac_f32_e32 v4, 0x4f800000, v7
	v_rcp_f32_e32 v4, v4
	v_mul_f32_e32 v4, 0x5f7ffffc, v4
	v_mul_f32_e32 v7, 0x2f800000, v4
	v_trunc_f32_e32 v7, v7
	v_fmac_f32_e32 v4, 0xcf800000, v7
	v_cvt_u32_f32_e32 v7, v7
	v_cvt_u32_f32_e32 v4, v4
	v_mul_lo_u32 v8, s0, v7
	v_mul_hi_u32 v9, s0, v4
	v_mul_lo_u32 v10, s26, v4
	v_add_nc_u32_e32 v8, v9, v8
	v_mul_lo_u32 v9, s0, v4
	v_add_nc_u32_e32 v8, v8, v10
	v_mul_hi_u32 v10, v4, v9
	v_mul_lo_u32 v11, v4, v8
	v_mul_hi_u32 v12, v4, v8
	v_mul_hi_u32 v13, v7, v9
	v_mul_lo_u32 v9, v7, v9
	v_mul_hi_u32 v14, v7, v8
	v_mul_lo_u32 v8, v7, v8
	v_add_co_u32 v10, vcc_lo, v10, v11
	v_add_co_ci_u32_e32 v11, vcc_lo, 0, v12, vcc_lo
	v_add_co_u32 v9, vcc_lo, v10, v9
	v_add_co_ci_u32_e32 v9, vcc_lo, v11, v13, vcc_lo
	v_add_co_ci_u32_e32 v10, vcc_lo, 0, v14, vcc_lo
	v_add_co_u32 v8, vcc_lo, v9, v8
	v_add_co_ci_u32_e32 v9, vcc_lo, 0, v10, vcc_lo
	v_add_co_u32 v4, vcc_lo, v4, v8
	v_add_co_ci_u32_e32 v7, vcc_lo, v7, v9, vcc_lo
	v_mul_hi_u32 v8, s0, v4
	v_mul_lo_u32 v10, s26, v4
	v_mul_lo_u32 v9, s0, v7
	v_add_nc_u32_e32 v8, v8, v9
	v_mul_lo_u32 v9, s0, v4
	v_add_nc_u32_e32 v8, v8, v10
	v_mul_hi_u32 v10, v4, v9
	v_mul_lo_u32 v11, v4, v8
	v_mul_hi_u32 v12, v4, v8
	v_mul_hi_u32 v13, v7, v9
	v_mul_lo_u32 v9, v7, v9
	v_mul_hi_u32 v14, v7, v8
	v_mul_lo_u32 v8, v7, v8
	v_add_co_u32 v10, vcc_lo, v10, v11
	v_add_co_ci_u32_e32 v11, vcc_lo, 0, v12, vcc_lo
	v_add_co_u32 v9, vcc_lo, v10, v9
	v_add_co_ci_u32_e32 v9, vcc_lo, v11, v13, vcc_lo
	v_add_co_ci_u32_e32 v10, vcc_lo, 0, v14, vcc_lo
	v_add_co_u32 v8, vcc_lo, v9, v8
	v_add_co_ci_u32_e32 v9, vcc_lo, 0, v10, vcc_lo
	v_add_co_u32 v4, vcc_lo, v4, v8
	v_add_co_ci_u32_e32 v11, vcc_lo, v7, v9, vcc_lo
	v_mul_hi_u32 v13, v5, v4
	v_mad_u64_u32 v[9:10], null, v6, v4, 0
	v_mad_u64_u32 v[7:8], null, v5, v11, 0
	;; [unrolled: 1-line block ×3, first 2 shown]
	v_add_co_u32 v4, vcc_lo, v13, v7
	v_add_co_ci_u32_e32 v7, vcc_lo, 0, v8, vcc_lo
	v_add_co_u32 v4, vcc_lo, v4, v9
	v_add_co_ci_u32_e32 v4, vcc_lo, v7, v10, vcc_lo
	v_add_co_ci_u32_e32 v7, vcc_lo, 0, v12, vcc_lo
	v_add_co_u32 v4, vcc_lo, v4, v11
	v_add_co_ci_u32_e32 v9, vcc_lo, 0, v7, vcc_lo
	v_mul_lo_u32 v10, s25, v4
	v_mad_u64_u32 v[7:8], null, s24, v4, 0
	v_mul_lo_u32 v11, s24, v9
	v_sub_co_u32 v7, vcc_lo, v5, v7
	v_add3_u32 v8, v8, v11, v10
	v_sub_nc_u32_e32 v10, v6, v8
	v_subrev_co_ci_u32_e64 v10, s0, s25, v10, vcc_lo
	v_add_co_u32 v11, s0, v4, 2
	v_add_co_ci_u32_e64 v12, s0, 0, v9, s0
	v_sub_co_u32 v13, s0, v7, s24
	v_sub_co_ci_u32_e32 v8, vcc_lo, v6, v8, vcc_lo
	v_subrev_co_ci_u32_e64 v10, s0, 0, v10, s0
	v_cmp_le_u32_e32 vcc_lo, s24, v13
	v_cmp_eq_u32_e64 s0, s25, v8
	v_cndmask_b32_e64 v13, 0, -1, vcc_lo
	v_cmp_le_u32_e32 vcc_lo, s25, v10
	v_cndmask_b32_e64 v14, 0, -1, vcc_lo
	v_cmp_le_u32_e32 vcc_lo, s24, v7
	;; [unrolled: 2-line block ×3, first 2 shown]
	v_cndmask_b32_e64 v15, 0, -1, vcc_lo
	v_cmp_eq_u32_e32 vcc_lo, s25, v10
	v_cndmask_b32_e64 v7, v15, v7, s0
	v_cndmask_b32_e32 v10, v14, v13, vcc_lo
	v_add_co_u32 v13, vcc_lo, v4, 1
	v_add_co_ci_u32_e32 v14, vcc_lo, 0, v9, vcc_lo
	v_cmp_ne_u32_e32 vcc_lo, 0, v10
	v_cndmask_b32_e32 v8, v14, v12, vcc_lo
	v_cndmask_b32_e32 v10, v13, v11, vcc_lo
	v_cmp_ne_u32_e32 vcc_lo, 0, v7
	v_cndmask_b32_e32 v81, v9, v8, vcc_lo
	v_cndmask_b32_e32 v80, v4, v10, vcc_lo
.LBB0_4:                                ;   in Loop: Header=BB0_2 Depth=1
	s_andn2_saveexec_b32 s0, s1
	s_cbranch_execz .LBB0_6
; %bb.5:                                ;   in Loop: Header=BB0_2 Depth=1
	v_cvt_f32_u32_e32 v4, s24
	s_sub_i32 s1, 0, s24
	v_mov_b32_e32 v81, v3
	v_rcp_iflag_f32_e32 v4, v4
	v_mul_f32_e32 v4, 0x4f7ffffe, v4
	v_cvt_u32_f32_e32 v4, v4
	v_mul_lo_u32 v7, s1, v4
	v_mul_hi_u32 v7, v4, v7
	v_add_nc_u32_e32 v4, v4, v7
	v_mul_hi_u32 v4, v5, v4
	v_mul_lo_u32 v7, v4, s24
	v_add_nc_u32_e32 v8, 1, v4
	v_sub_nc_u32_e32 v7, v5, v7
	v_subrev_nc_u32_e32 v9, s24, v7
	v_cmp_le_u32_e32 vcc_lo, s24, v7
	v_cndmask_b32_e32 v7, v7, v9, vcc_lo
	v_cndmask_b32_e32 v4, v4, v8, vcc_lo
	v_cmp_le_u32_e32 vcc_lo, s24, v7
	v_add_nc_u32_e32 v8, 1, v4
	v_cndmask_b32_e32 v80, v4, v8, vcc_lo
.LBB0_6:                                ;   in Loop: Header=BB0_2 Depth=1
	s_or_b32 exec_lo, exec_lo, s0
	v_mul_lo_u32 v4, v81, s24
	v_mul_lo_u32 v9, v80, s25
	s_load_dwordx2 s[0:1], s[6:7], 0x0
	v_mad_u64_u32 v[7:8], null, v80, s24, 0
	s_load_dwordx2 s[24:25], s[2:3], 0x0
	s_add_u32 s22, s22, 1
	s_addc_u32 s23, s23, 0
	s_add_u32 s2, s2, 8
	s_addc_u32 s3, s3, 0
	s_add_u32 s6, s6, 8
	v_add3_u32 v4, v8, v9, v4
	v_sub_co_u32 v5, vcc_lo, v5, v7
	s_addc_u32 s7, s7, 0
	s_add_u32 s20, s20, 8
	v_sub_co_ci_u32_e32 v4, vcc_lo, v6, v4, vcc_lo
	s_addc_u32 s21, s21, 0
	s_waitcnt lgkmcnt(0)
	v_mul_lo_u32 v6, s0, v4
	v_mul_lo_u32 v7, s1, v5
	v_mad_u64_u32 v[1:2], null, s0, v5, v[1:2]
	v_mul_lo_u32 v4, s24, v4
	v_mul_lo_u32 v8, s25, v5
	v_mad_u64_u32 v[76:77], null, s24, v5, v[76:77]
	v_cmp_ge_u64_e64 s0, s[22:23], s[14:15]
	v_add3_u32 v2, v7, v2, v6
	v_add3_u32 v77, v8, v77, v4
	s_and_b32 vcc_lo, exec_lo, s0
	s_cbranch_vccnz .LBB0_9
; %bb.7:                                ;   in Loop: Header=BB0_2 Depth=1
	v_mov_b32_e32 v5, v80
	v_mov_b32_e32 v6, v81
	s_branch .LBB0_2
.LBB0_8:
	v_mov_b32_e32 v77, v2
	v_mov_b32_e32 v81, v6
	;; [unrolled: 1-line block ×4, first 2 shown]
.LBB0_9:
	s_load_dwordx2 s[0:1], s[4:5], 0x28
	v_mul_hi_u32 v3, 0x2828283, v0
	s_lshl_b64 s[4:5], s[14:15], 3
                                        ; implicit-def: $vgpr78
	s_add_u32 s2, s18, s4
	s_addc_u32 s3, s19, s5
	s_waitcnt lgkmcnt(0)
	v_cmp_gt_u64_e32 vcc_lo, s[0:1], v[80:81]
	v_cmp_le_u64_e64 s0, s[0:1], v[80:81]
	s_and_saveexec_b32 s1, s0
	s_xor_b32 s0, exec_lo, s1
; %bb.10:
	v_mul_u32_u24_e32 v1, 0x66, v3
                                        ; implicit-def: $vgpr3
	v_sub_nc_u32_e32 v78, v0, v1
                                        ; implicit-def: $vgpr0
                                        ; implicit-def: $vgpr1_vgpr2
; %bb.11:
	s_andn2_saveexec_b32 s1, s0
	s_cbranch_execz .LBB0_13
; %bb.12:
	s_add_u32 s4, s16, s4
	s_addc_u32 s5, s17, s5
	v_lshlrev_b64 v[1:2], 4, v[1:2]
	s_load_dwordx2 s[4:5], s[4:5], 0x0
	s_waitcnt lgkmcnt(0)
	v_mul_lo_u32 v6, s5, v80
	v_mul_lo_u32 v7, s4, v81
	v_mad_u64_u32 v[4:5], null, s4, v80, 0
	v_add3_u32 v5, v5, v7, v6
	v_mul_u32_u24_e32 v6, 0x66, v3
	v_lshlrev_b64 v[3:4], 4, v[4:5]
	v_sub_nc_u32_e32 v78, v0, v6
	v_lshlrev_b32_e32 v60, 4, v78
	v_add_co_u32 v0, s0, s8, v3
	v_add_co_ci_u32_e64 v3, s0, s9, v4, s0
	v_add_co_u32 v0, s0, v0, v1
	v_add_co_ci_u32_e64 v1, s0, v3, v2, s0
	v_add_co_u32 v8, s0, v0, v60
	v_add_co_ci_u32_e64 v9, s0, 0, v1, s0
	s_clause 0x1
	global_load_dwordx4 v[0:3], v[8:9], off
	global_load_dwordx4 v[4:7], v[8:9], off offset:1632
	v_add_co_u32 v10, s0, 0x800, v8
	v_add_co_ci_u32_e64 v11, s0, 0, v9, s0
	v_add_co_u32 v12, s0, 0x1000, v8
	v_add_co_ci_u32_e64 v13, s0, 0, v9, s0
	;; [unrolled: 2-line block ×11, first 2 shown]
	s_clause 0xc
	global_load_dwordx4 v[8:11], v[10:11], off offset:1216
	global_load_dwordx4 v[12:15], v[12:13], off offset:800
	;; [unrolled: 1-line block ×13, first 2 shown]
	v_add_nc_u32_e32 v60, 0, v60
	s_waitcnt vmcnt(14)
	ds_write_b128 v60, v[0:3]
	s_waitcnt vmcnt(13)
	ds_write_b128 v60, v[4:7] offset:1632
	s_waitcnt vmcnt(12)
	ds_write_b128 v60, v[8:11] offset:3264
	s_waitcnt vmcnt(11)
	ds_write_b128 v60, v[12:15] offset:4896
	s_waitcnt vmcnt(10)
	ds_write_b128 v60, v[16:19] offset:6528
	s_waitcnt vmcnt(9)
	ds_write_b128 v60, v[20:23] offset:8160
	s_waitcnt vmcnt(8)
	ds_write_b128 v60, v[24:27] offset:9792
	s_waitcnt vmcnt(7)
	ds_write_b128 v60, v[28:31] offset:11424
	s_waitcnt vmcnt(6)
	ds_write_b128 v60, v[32:35] offset:13056
	s_waitcnt vmcnt(5)
	ds_write_b128 v60, v[36:39] offset:14688
	s_waitcnt vmcnt(4)
	ds_write_b128 v60, v[40:43] offset:16320
	s_waitcnt vmcnt(3)
	ds_write_b128 v60, v[44:47] offset:17952
	s_waitcnt vmcnt(2)
	ds_write_b128 v60, v[48:51] offset:19584
	s_waitcnt vmcnt(1)
	ds_write_b128 v60, v[52:55] offset:21216
	s_waitcnt vmcnt(0)
	ds_write_b128 v60, v[56:59] offset:22848
.LBB0_13:
	s_or_b32 exec_lo, exec_lo, s1
	v_lshl_add_u32 v230, v78, 4, 0
	s_waitcnt lgkmcnt(0)
	s_barrier
	buffer_gl0_inv
	s_mov_b32 s14, 0x5d8e7cdc
	ds_read_b128 v[8:11], v230 offset:23040
	ds_read_b128 v[36:39], v230 offset:1440
	;; [unrolled: 1-line block ×4, first 2 shown]
	ds_read_b128 v[20:23], v230
	s_mov_b32 s6, 0x2a9d6da3
	s_mov_b32 s15, 0xbfd71e95
	;; [unrolled: 1-line block ×3, first 2 shown]
	ds_read_b128 v[40:43], v230 offset:4320
	ds_read_b128 v[16:19], v230 offset:20160
	s_mov_b32 s8, 0x370991
	s_mov_b32 s4, 0x75d4884
	;; [unrolled: 1-line block ×6, first 2 shown]
	ds_read_b128 v[24:27], v230 offset:18720
	ds_read_b128 v[72:75], v230 offset:5760
	s_mov_b32 s16, 0x7c9e640b
	s_mov_b32 s18, 0x3259b75e
	s_mov_b32 s36, 0x6c9a05f6
	s_mov_b32 s17, 0xbfeca52d
	s_waitcnt lgkmcnt(7)
	v_add_f64 v[94:95], v[38:39], -v[10:11]
	v_add_f64 v[86:87], v[36:37], -v[8:9]
	s_waitcnt lgkmcnt(5)
	v_add_f64 v[84:85], v[34:35], -v[14:15]
	v_add_f64 v[82:83], v[32:33], -v[12:13]
	v_add_f64 v[92:93], v[36:37], v[8:9]
	v_add_f64 v[96:97], v[38:39], v[10:11]
	;; [unrolled: 1-line block ×3, first 2 shown]
	s_waitcnt lgkmcnt(2)
	v_add_f64 v[192:193], v[42:43], -v[18:19]
	v_add_f64 v[148:149], v[40:41], -v[16:17]
	v_add_f64 v[204:205], v[34:35], v[14:15]
	s_mov_b32 s19, 0x3fb79ee6
	s_mov_b32 s37, 0xbfe9895b
	v_add_f64 v[180:181], v[40:41], v[16:17]
	v_add_f64 v[202:203], v[42:43], v[18:19]
	ds_read_b128 v[56:59], v230 offset:7200
	ds_read_b128 v[28:31], v230 offset:17280
	s_waitcnt lgkmcnt(2)
	v_add_f64 v[116:117], v[74:75], -v[26:27]
	v_add_f64 v[98:99], v[72:73], -v[24:25]
	s_mov_b32 s26, 0x2b2883cd
	s_mov_b32 s28, 0x6ed5f1bb
	;; [unrolled: 1-line block ×5, first 2 shown]
	v_mul_f64 v[88:89], v[94:95], s[14:15]
	v_mul_f64 v[90:91], v[86:87], s[14:15]
	;; [unrolled: 1-line block ×12, first 2 shown]
	s_mov_b32 s43, 0xbfc7851a
	v_add_f64 v[108:109], v[72:73], v[24:25]
	v_add_f64 v[190:191], v[74:75], v[26:27]
	s_waitcnt lgkmcnt(0)
	v_add_f64 v[132:133], v[58:59], -v[30:31]
	v_add_f64 v[100:101], v[56:57], -v[28:29]
	v_mul_f64 v[120:121], v[116:117], s[20:21]
	v_mul_f64 v[134:135], v[98:99], s[20:21]
	;; [unrolled: 1-line block ×4, first 2 shown]
	ds_read_b128 v[44:47], v230 offset:15840
	ds_read_b128 v[68:71], v230 offset:8640
	v_fma_f64 v[0:1], v[92:93], s[8:9], v[88:89]
	v_fma_f64 v[2:3], v[96:97], s[8:9], -v[90:91]
	v_fma_f64 v[4:5], v[92:93], s[4:5], v[206:207]
	v_fma_f64 v[6:7], v[96:97], s[4:5], -v[208:209]
	;; [unrolled: 2-line block ×6, first 2 shown]
	s_mov_b32 s30, 0x923c349f
	s_mov_b32 s22, 0x4363dd80
	;; [unrolled: 1-line block ×6, first 2 shown]
	v_add_f64 v[110:111], v[56:57], v[28:29]
	v_add_f64 v[194:195], v[58:59], v[30:31]
	s_waitcnt lgkmcnt(0)
	v_add_f64 v[154:155], v[70:71], -v[46:47]
	v_add_f64 v[102:103], v[68:69], -v[44:45]
	v_add_f64 v[0:1], v[20:21], v[0:1]
	v_add_f64 v[2:3], v[22:23], v[2:3]
	v_add_f64 v[4:5], v[20:21], v[4:5]
	v_add_f64 v[6:7], v[22:23], v[6:7]
	v_mul_f64 v[128:129], v[132:133], s[30:31]
	v_mul_f64 v[130:131], v[100:101], s[30:31]
	;; [unrolled: 1-line block ×4, first 2 shown]
	v_fma_f64 v[112:113], v[108:109], s[18:19], v[120:121]
	v_fma_f64 v[118:119], v[190:191], s[18:19], -v[134:135]
	v_fma_f64 v[138:139], v[108:109], s[46:47], v[156:157]
	v_fma_f64 v[144:145], v[190:191], s[46:47], -v[186:187]
	s_mov_b32 s34, 0xc61f0d01
	s_mov_b32 s24, 0x910ea3b9
	s_mov_b32 s35, 0xbfd183b1
	s_mov_b32 s25, 0xbfeb34fa
	s_mov_b32 s45, 0x3feec746
	s_mov_b32 s44, s30
	v_add_f64 v[114:115], v[68:69], v[44:45]
	v_add_f64 v[196:197], v[70:71], v[46:47]
	v_mul_f64 v[136:137], v[154:155], s[36:37]
	v_mul_f64 v[150:151], v[102:103], s[36:37]
	v_add_f64 v[0:1], v[48:49], v[0:1]
	v_add_f64 v[2:3], v[50:51], v[2:3]
	;; [unrolled: 1-line block ×4, first 2 shown]
	ds_read_b128 v[60:63], v230 offset:10080
	ds_read_b128 v[48:51], v230 offset:14400
	v_mul_f64 v[158:159], v[154:155], s[44:45]
	v_mul_f64 v[172:173], v[102:103], s[44:45]
	v_fma_f64 v[152:153], v[110:111], s[34:35], v[128:129]
	v_fma_f64 v[164:165], v[194:195], s[34:35], -v[130:131]
	v_fma_f64 v[178:179], v[110:111], s[24:25], v[166:167]
	v_fma_f64 v[200:201], v[194:195], s[24:25], -v[142:143]
	s_mov_b32 s39, 0xbfe0d888
	s_mov_b32 s49, 0x3feca52d
	;; [unrolled: 1-line block ×6, first 2 shown]
	s_mov_b32 s33, exec_lo
	v_fma_f64 v[210:211], v[114:115], s[28:29], v[136:137]
	v_fma_f64 v[212:213], v[196:197], s[28:29], -v[150:151]
	v_add_f64 v[0:1], v[64:65], v[0:1]
	v_add_f64 v[2:3], v[66:67], v[2:3]
	;; [unrolled: 1-line block ×4, first 2 shown]
	s_waitcnt lgkmcnt(0)
	v_add_f64 v[170:171], v[62:63], -v[50:51]
	v_add_f64 v[106:107], v[60:61], -v[48:49]
	ds_read_b128 v[64:67], v230 offset:11520
	ds_read_b128 v[52:55], v230 offset:12960
	v_add_f64 v[198:199], v[62:63], v[50:51]
	v_fma_f64 v[214:215], v[114:115], s[34:35], v[158:159]
	v_fma_f64 v[216:217], v[196:197], s[34:35], -v[172:173]
	s_waitcnt lgkmcnt(0)
	s_barrier
	buffer_gl0_inv
	v_add_f64 v[0:1], v[112:113], v[0:1]
	v_add_f64 v[2:3], v[118:119], v[2:3]
	;; [unrolled: 1-line block ×5, first 2 shown]
	v_add_f64 v[174:175], v[66:67], -v[54:55]
	v_add_f64 v[104:105], v[64:65], -v[52:53]
	v_mul_f64 v[144:145], v[170:171], s[38:39]
	v_mul_f64 v[160:161], v[106:107], s[38:39]
	;; [unrolled: 1-line block ×4, first 2 shown]
	v_add_f64 v[112:113], v[64:65], v[52:53]
	v_add_f64 v[0:1], v[152:153], v[0:1]
	;; [unrolled: 1-line block ×6, first 2 shown]
	v_mul_f64 v[138:139], v[174:175], s[42:43]
	v_mul_f64 v[152:153], v[104:105], s[42:43]
	;; [unrolled: 1-line block ×4, first 2 shown]
	v_fma_f64 v[218:219], v[118:119], s[24:25], v[144:145]
	v_fma_f64 v[220:221], v[198:199], s[24:25], -v[160:161]
	v_fma_f64 v[222:223], v[118:119], s[26:27], v[168:169]
	v_fma_f64 v[224:225], v[198:199], s[26:27], -v[176:177]
	v_add_f64 v[0:1], v[210:211], v[0:1]
	v_add_f64 v[2:3], v[212:213], v[2:3]
	;; [unrolled: 1-line block ×4, first 2 shown]
	v_fma_f64 v[210:211], v[112:113], s[46:47], v[138:139]
	v_fma_f64 v[212:213], v[200:201], s[46:47], -v[152:153]
	v_fma_f64 v[214:215], v[112:113], s[8:9], v[164:165]
	v_fma_f64 v[216:217], v[200:201], s[8:9], -v[178:179]
	v_add_f64 v[0:1], v[218:219], v[0:1]
	v_add_f64 v[2:3], v[220:221], v[2:3]
	;; [unrolled: 1-line block ×8, first 2 shown]
	v_cmpx_gt_u32_e32 0x5a, v78
	s_cbranch_execz .LBB0_15
; %bb.14:
	v_mul_f64 v[210:211], v[96:97], s[46:47]
	v_mul_f64 v[212:213], v[94:95], s[42:43]
	s_mov_b32 s51, 0x3fc7851a
	s_mov_b32 s50, s42
	v_mul_f64 v[214:215], v[204:205], s[8:9]
	v_mul_f64 v[218:219], v[84:85], s[40:41]
	;; [unrolled: 1-line block ×4, first 2 shown]
	s_mov_b32 s1, 0x3fe58eea
	s_mov_b32 s0, s6
	v_mul_f64 v[231:232], v[190:191], s[4:5]
	v_mul_f64 v[233:234], v[116:117], s[0:1]
	s_mov_b32 s53, 0x3fe9895b
	s_mov_b32 s52, s36
	v_add_f64 v[38:39], v[22:23], v[38:39]
	v_add_f64 v[36:37], v[20:21], v[36:37]
	v_mul_f64 v[243:244], v[84:85], s[48:49]
	s_mov_b32 s55, 0x3fefdd0d
	s_mov_b32 s54, s20
	buffer_store_dword v152, off, s[56:59], 0 ; 4-byte Folded Spill
	buffer_store_dword v153, off, s[56:59], 0 offset:4 ; 4-byte Folded Spill
	v_mul_f64 v[253:254], v[174:175], s[54:55]
	buffer_store_dword v138, off, s[56:59], 0 offset:8 ; 4-byte Folded Spill
	buffer_store_dword v139, off, s[56:59], 0 offset:12 ; 4-byte Folded Spill
	v_fma_f64 v[216:217], v[86:87], s[50:51], v[210:211]
	v_fma_f64 v[220:221], v[92:93], s[46:47], v[212:213]
	;; [unrolled: 1-line block ×3, first 2 shown]
	v_fma_f64 v[212:213], v[92:93], s[46:47], -v[212:213]
	v_fma_f64 v[226:227], v[82:83], s[14:15], v[214:215]
	v_fma_f64 v[228:229], v[188:189], s[8:9], v[218:219]
	;; [unrolled: 1-line block ×3, first 2 shown]
	v_fma_f64 v[218:219], v[188:189], s[8:9], -v[218:219]
	v_fma_f64 v[235:236], v[148:149], s[22:23], v[222:223]
	v_fma_f64 v[222:223], v[148:149], s[38:39], v[222:223]
	;; [unrolled: 1-line block ×4, first 2 shown]
	v_mov_b32_e32 v153, v145
	v_mov_b32_e32 v139, v131
	v_add_f64 v[34:35], v[38:39], v[34:35]
	v_add_f64 v[32:33], v[36:37], v[32:33]
	v_fma_f64 v[251:252], v[188:189], s[26:27], v[243:244]
	v_mov_b32_e32 v152, v144
	v_mov_b32_e32 v145, v137
	;; [unrolled: 1-line block ×5, first 2 shown]
	v_add_f64 v[216:217], v[22:23], v[216:217]
	v_add_f64 v[220:221], v[20:21], v[220:221]
	;; [unrolled: 1-line block ×4, first 2 shown]
	v_mov_b32_e32 v137, v129
	v_mov_b32_e32 v130, v126
	;; [unrolled: 1-line block ×10, first 2 shown]
	v_add_f64 v[34:35], v[34:35], v[42:43]
	v_add_f64 v[32:33], v[32:33], v[40:41]
	v_mul_f64 v[40:41], v[96:97], s[28:29]
	v_mul_f64 v[42:43], v[94:95], s[36:37]
	v_mov_b32_e32 v123, v91
	v_mul_f64 v[249:250], v[194:195], s[8:9]
	v_fma_f64 v[243:244], v[188:189], s[26:27], -v[243:244]
	v_mov_b32_e32 v120, v88
	v_add_f64 v[216:217], v[226:227], v[216:217]
	v_fma_f64 v[226:227], v[180:181], s[24:25], v[224:225]
	v_add_f64 v[220:221], v[228:229], v[220:221]
	v_add_f64 v[214:215], v[214:215], v[210:211]
	v_fma_f64 v[224:225], v[180:181], s[24:25], -v[224:225]
	v_add_f64 v[228:229], v[218:219], v[212:213]
	v_mul_f64 v[212:213], v[194:195], s[28:29]
	v_mul_f64 v[210:211], v[132:133], s[36:37]
	v_fma_f64 v[218:219], v[98:99], s[0:1], v[231:232]
	v_mov_b32_e32 v122, v90
	v_add_f64 v[74:75], v[34:35], v[74:75]
	v_add_f64 v[72:73], v[32:33], v[72:73]
	v_fma_f64 v[88:89], v[86:87], s[52:53], v[40:41]
	v_fma_f64 v[90:91], v[92:93], s[28:29], v[42:43]
	;; [unrolled: 1-line block ×3, first 2 shown]
	v_fma_f64 v[42:43], v[92:93], s[28:29], -v[42:43]
	v_add_f64 v[235:236], v[235:236], v[216:217]
	v_mul_f64 v[216:217], v[96:97], s[24:25]
	v_add_f64 v[241:242], v[226:227], v[220:221]
	v_add_f64 v[222:223], v[222:223], v[214:215]
	v_fma_f64 v[220:221], v[108:109], s[4:5], -v[233:234]
	v_add_f64 v[224:225], v[224:225], v[228:229]
	v_mul_f64 v[214:215], v[196:197], s[26:27]
	v_mul_f64 v[226:227], v[94:95], s[38:39]
	v_mul_f64 v[228:229], v[154:155], s[48:49]
	v_fma_f64 v[231:232], v[100:101], s[52:53], v[212:213]
	v_fma_f64 v[212:213], v[100:101], s[36:37], v[212:213]
	v_add_f64 v[58:59], v[74:75], v[58:59]
	v_mul_f64 v[74:75], v[174:175], s[30:31]
	v_add_f64 v[88:89], v[22:23], v[88:89]
	v_add_f64 v[90:91], v[20:21], v[90:91]
	;; [unrolled: 1-line block ×4, first 2 shown]
	v_mul_f64 v[72:73], v[96:97], s[34:35]
	v_add_f64 v[233:234], v[237:238], v[235:236]
	v_fma_f64 v[235:236], v[110:111], s[28:29], v[210:211]
	v_add_f64 v[237:238], v[239:240], v[241:242]
	v_mul_f64 v[239:240], v[204:205], s[26:27]
	v_fma_f64 v[241:242], v[86:87], s[22:23], v[216:217]
	v_add_f64 v[218:219], v[218:219], v[222:223]
	v_fma_f64 v[210:211], v[110:111], s[28:29], -v[210:211]
	v_add_f64 v[220:221], v[220:221], v[224:225]
	v_mul_f64 v[224:225], v[198:199], s[34:35]
	v_fma_f64 v[245:246], v[92:93], s[24:25], v[226:227]
	v_fma_f64 v[216:217], v[86:87], s[38:39], v[216:217]
	;; [unrolled: 1-line block ×3, first 2 shown]
	v_mul_f64 v[222:223], v[200:201], s[18:19]
	v_fma_f64 v[214:215], v[102:103], s[48:49], v[214:215]
	v_fma_f64 v[226:227], v[92:93], s[24:25], -v[226:227]
	v_add_f64 v[58:59], v[58:59], v[70:71]
	v_fma_f64 v[70:71], v[112:113], s[34:35], v[74:75]
	v_fma_f64 v[74:75], v[112:113], s[34:35], -v[74:75]
	v_add_f64 v[56:57], v[56:57], v[68:69]
	v_fma_f64 v[68:69], v[86:87], s[44:45], v[72:73]
	v_fma_f64 v[72:73], v[86:87], s[30:31], v[72:73]
	v_add_f64 v[231:232], v[231:232], v[233:234]
	v_fma_f64 v[233:234], v[114:115], s[26:27], v[228:229]
	v_add_f64 v[235:236], v[235:236], v[237:238]
	v_mul_f64 v[237:238], v[170:171], s[30:31]
	v_fma_f64 v[36:37], v[82:83], s[16:17], v[239:240]
	v_add_f64 v[38:39], v[22:23], v[241:242]
	v_mul_f64 v[241:242], v[202:203], s[18:19]
	v_add_f64 v[212:213], v[212:213], v[218:219]
	v_fma_f64 v[218:219], v[114:115], s[26:27], -v[228:229]
	v_add_f64 v[210:211], v[210:211], v[220:221]
	v_mul_f64 v[220:221], v[190:191], s[28:29]
	v_mul_f64 v[228:229], v[192:193], s[20:21]
	v_add_f64 v[245:246], v[20:21], v[245:246]
	v_fma_f64 v[239:240], v[82:83], s[48:49], v[239:240]
	v_add_f64 v[216:217], v[22:23], v[216:217]
	v_add_f64 v[226:227], v[20:21], v[226:227]
	;; [unrolled: 1-line block ×7, first 2 shown]
	v_fma_f64 v[247:248], v[106:107], s[44:45], v[224:225]
	v_add_f64 v[233:234], v[233:234], v[235:236]
	v_fma_f64 v[235:236], v[118:119], s[34:35], v[237:238]
	v_fma_f64 v[224:225], v[106:107], s[30:31], v[224:225]
	v_add_f64 v[36:37], v[36:37], v[38:39]
	v_fma_f64 v[38:39], v[148:149], s[54:55], v[241:242]
	v_add_f64 v[212:213], v[214:215], v[212:213]
	v_fma_f64 v[214:215], v[118:119], s[34:35], -v[237:238]
	v_add_f64 v[210:211], v[218:219], v[210:211]
	v_mul_f64 v[218:219], v[204:205], s[34:35]
	v_mul_f64 v[237:238], v[84:85], s[44:45]
	v_add_f64 v[245:246], v[251:252], v[245:246]
	v_fma_f64 v[251:252], v[180:181], s[18:19], v[228:229]
	v_add_f64 v[216:217], v[239:240], v[216:217]
	v_mul_f64 v[239:240], v[116:117], s[52:53]
	v_fma_f64 v[241:242], v[148:149], s[20:21], v[241:242]
	v_add_f64 v[226:227], v[243:244], v[226:227]
	v_mul_f64 v[243:244], v[202:203], s[8:9]
	v_fma_f64 v[228:229], v[180:181], s[18:19], -v[228:229]
	v_add_f64 v[62:63], v[62:63], v[66:67]
	v_add_f64 v[60:61], v[60:61], v[64:65]
	;; [unrolled: 1-line block ×3, first 2 shown]
	v_fma_f64 v[247:248], v[104:105], s[20:21], v[222:223]
	v_add_f64 v[233:234], v[235:236], v[233:234]
	v_fma_f64 v[235:236], v[112:113], s[18:19], v[253:254]
	v_fma_f64 v[222:223], v[104:105], s[54:55], v[222:223]
	v_add_f64 v[36:37], v[38:39], v[36:37]
	v_fma_f64 v[38:39], v[98:99], s[36:37], v[220:221]
	v_add_f64 v[212:213], v[224:225], v[212:213]
	v_mul_f64 v[224:225], v[196:197], s[46:47]
	v_add_f64 v[210:211], v[214:215], v[210:211]
	v_mul_f64 v[214:215], v[132:133], s[14:15]
	v_fma_f64 v[253:254], v[112:113], s[18:19], -v[253:254]
	v_add_f64 v[245:246], v[251:252], v[245:246]
	v_mul_f64 v[251:252], v[192:193], s[14:15]
	v_fma_f64 v[220:221], v[98:99], s[52:53], v[220:221]
	v_add_f64 v[216:217], v[241:242], v[216:217]
	v_fma_f64 v[241:242], v[108:109], s[28:29], v[239:240]
	v_add_f64 v[226:227], v[228:229], v[226:227]
	v_add_f64 v[54:55], v[62:63], v[54:55]
	;; [unrolled: 1-line block ×4, first 2 shown]
	v_fma_f64 v[231:232], v[82:83], s[30:31], v[218:219]
	v_add_f64 v[32:33], v[235:236], v[233:234]
	v_fma_f64 v[233:234], v[188:189], s[34:35], v[237:238]
	v_fma_f64 v[247:248], v[100:101], s[40:41], v[249:250]
	v_add_f64 v[235:236], v[38:39], v[36:37]
	v_add_f64 v[38:39], v[222:223], v[212:213]
	v_fma_f64 v[212:213], v[82:83], s[44:45], v[218:219]
	v_mul_f64 v[218:219], v[190:191], s[24:25]
	v_fma_f64 v[222:223], v[108:109], s[28:29], -v[239:240]
	v_add_f64 v[36:37], v[253:254], v[210:211]
	v_mul_f64 v[210:211], v[154:155], s[42:43]
	v_fma_f64 v[228:229], v[110:111], s[8:9], v[214:215]
	v_fma_f64 v[214:215], v[110:111], s[8:9], -v[214:215]
	v_add_f64 v[216:217], v[220:221], v[216:217]
	v_add_f64 v[239:240], v[241:242], v[245:246]
	v_mul_f64 v[241:242], v[116:117], s[38:39]
	v_fma_f64 v[245:246], v[100:101], s[14:15], v[249:250]
	v_fma_f64 v[220:221], v[148:149], s[40:41], v[243:244]
	v_fma_f64 v[243:244], v[148:149], s[14:15], v[243:244]
	v_fma_f64 v[237:238], v[188:189], s[34:35], -v[237:238]
	v_mul_f64 v[249:250], v[204:205], s[24:25]
	v_mul_f64 v[253:254], v[84:85], s[42:43]
	v_add_f64 v[88:89], v[231:232], v[88:89]
	v_fma_f64 v[231:232], v[180:181], s[8:9], v[251:252]
	v_add_f64 v[90:91], v[233:234], v[90:91]
	v_fma_f64 v[233:234], v[102:103], s[50:51], v[224:225]
	v_add_f64 v[235:236], v[247:248], v[235:236]
	v_mul_f64 v[247:248], v[198:199], s[4:5]
	v_add_f64 v[40:41], v[212:213], v[40:41]
	v_mul_f64 v[212:213], v[194:195], s[18:19]
	v_add_f64 v[222:223], v[222:223], v[226:227]
	v_fma_f64 v[224:225], v[102:103], s[42:43], v[224:225]
	v_fma_f64 v[226:227], v[114:115], s[46:47], v[210:211]
	v_fma_f64 v[210:211], v[114:115], s[46:47], -v[210:211]
	v_add_f64 v[50:51], v[54:55], v[50:51]
	v_add_f64 v[48:49], v[52:53], v[48:49]
	;; [unrolled: 1-line block ×3, first 2 shown]
	v_mul_f64 v[239:240], v[170:171], s[0:1]
	v_add_f64 v[216:217], v[245:246], v[216:217]
	v_mul_f64 v[245:246], v[132:133], s[54:55]
	v_mul_f64 v[52:53], v[190:191], s[8:9]
	v_add_f64 v[88:89], v[220:221], v[88:89]
	v_fma_f64 v[220:221], v[98:99], s[22:23], v[218:219]
	v_add_f64 v[90:91], v[231:232], v[90:91]
	v_fma_f64 v[231:232], v[108:109], s[24:25], v[241:242]
	v_add_f64 v[233:234], v[233:234], v[235:236]
	v_fma_f64 v[235:236], v[106:107], s[6:7], v[247:248]
	v_fma_f64 v[247:248], v[106:107], s[0:1], v[247:248]
	v_fma_f64 v[218:219], v[98:99], s[38:39], v[218:219]
	v_add_f64 v[214:215], v[214:215], v[222:223]
	v_mul_f64 v[222:223], v[200:201], s[34:35]
	v_add_f64 v[40:41], v[243:244], v[40:41]
	v_add_f64 v[243:244], v[20:21], v[42:43]
	;; [unrolled: 1-line block ×5, first 2 shown]
	v_fma_f64 v[228:229], v[118:119], s[4:5], v[239:240]
	v_add_f64 v[216:217], v[224:225], v[216:217]
	v_mul_f64 v[224:225], v[196:197], s[4:5]
	v_fma_f64 v[239:240], v[118:119], s[4:5], -v[239:240]
	v_mul_f64 v[48:49], v[194:195], s[26:27]
	v_fma_f64 v[50:51], v[98:99], s[14:15], v[52:53]
	v_fma_f64 v[52:53], v[98:99], s[40:41], v[52:53]
	v_add_f64 v[88:89], v[220:221], v[88:89]
	v_fma_f64 v[220:221], v[100:101], s[20:21], v[212:213]
	v_add_f64 v[90:91], v[231:232], v[90:91]
	;; [unrolled: 2-line block ×3, first 2 shown]
	v_mul_f64 v[235:236], v[154:155], s[6:7]
	v_fma_f64 v[212:213], v[100:101], s[54:55], v[212:213]
	v_add_f64 v[210:211], v[210:211], v[214:215]
	v_mul_f64 v[214:215], v[198:199], s[46:47]
	v_add_f64 v[218:219], v[218:219], v[40:41]
	v_add_f64 v[237:238], v[237:238], v[243:244]
	v_fma_f64 v[243:244], v[82:83], s[38:39], v[249:250]
	v_fma_f64 v[245:246], v[110:111], s[18:19], -v[245:246]
	v_add_f64 v[30:31], v[46:47], v[30:31]
	v_add_f64 v[226:227], v[228:229], v[226:227]
	v_fma_f64 v[228:229], v[104:105], s[44:45], v[222:223]
	v_add_f64 v[216:217], v[247:248], v[216:217]
	v_fma_f64 v[247:248], v[102:103], s[0:1], v[224:225]
	v_fma_f64 v[222:223], v[104:105], s[30:31], v[222:223]
	v_fma_f64 v[224:225], v[102:103], s[6:7], v[224:225]
	v_add_f64 v[28:29], v[44:45], v[28:29]
	v_add_f64 v[88:89], v[220:221], v[88:89]
	v_mul_f64 v[220:221], v[170:171], s[42:43]
	v_add_f64 v[90:91], v[231:232], v[90:91]
	v_fma_f64 v[231:232], v[114:115], s[4:5], v[235:236]
	v_fma_f64 v[235:236], v[114:115], s[4:5], -v[235:236]
	v_add_f64 v[210:211], v[239:240], v[210:211]
	v_mul_f64 v[239:240], v[92:93], s[8:9]
	v_add_f64 v[212:213], v[212:213], v[218:219]
	v_mul_f64 v[218:219], v[202:203], s[4:5]
	v_add_f64 v[68:69], v[243:244], v[68:69]
	v_add_f64 v[26:27], v[30:31], v[26:27]
	;; [unrolled: 1-line block ×4, first 2 shown]
	v_fma_f64 v[228:229], v[106:107], s[50:51], v[214:215]
	v_fma_f64 v[233:234], v[180:181], s[8:9], -v[251:252]
	v_mul_f64 v[70:71], v[94:95], s[30:31]
	v_mul_f64 v[226:227], v[96:97], s[8:9]
	;; [unrolled: 1-line block ×3, first 2 shown]
	v_add_f64 v[58:59], v[222:223], v[216:217]
	v_mul_f64 v[216:217], v[94:95], s[20:21]
	v_add_f64 v[88:89], v[247:248], v[88:89]
	v_mul_f64 v[247:248], v[96:97], s[18:19]
	v_mul_f64 v[94:95], v[94:95], s[16:17]
	v_fma_f64 v[222:223], v[108:109], s[24:25], -v[241:242]
	v_add_f64 v[90:91], v[231:232], v[90:91]
	v_fma_f64 v[231:232], v[118:119], s[46:47], v[220:221]
	v_add_f64 v[56:57], v[74:75], v[210:211]
	v_mul_f64 v[74:75], v[96:97], s[4:5]
	v_mul_f64 v[96:97], v[96:97], s[26:27]
	v_mul_f64 v[241:242], v[204:205], s[46:47]
	v_add_f64 v[239:240], v[239:240], -v[120:121]
	v_fma_f64 v[220:221], v[118:119], s[46:47], -v[220:221]
	v_mul_f64 v[210:211], v[188:189], s[4:5]
	v_add_f64 v[212:213], v[224:225], v[212:213]
	v_mul_f64 v[224:225], v[202:203], s[26:27]
	v_fma_f64 v[214:215], v[106:107], s[42:43], v[214:215]
	v_add_f64 v[24:25], v[28:29], v[24:25]
	v_add_f64 v[18:19], v[26:27], v[18:19]
	;; [unrolled: 1-line block ×3, first 2 shown]
	v_add_f64 v[206:207], v[251:252], -v[206:207]
	v_fma_f64 v[64:65], v[92:93], s[18:19], v[216:217]
	v_add_f64 v[88:89], v[228:229], v[88:89]
	v_add_f64 v[228:229], v[233:234], v[237:238]
	v_fma_f64 v[233:234], v[92:93], s[34:35], v[70:71]
	v_fma_f64 v[237:238], v[82:83], s[22:23], v[249:250]
	v_fma_f64 v[70:71], v[92:93], s[34:35], -v[70:71]
	v_add_f64 v[90:91], v[231:232], v[90:91]
	v_mul_f64 v[231:232], v[84:85], s[22:23]
	v_fma_f64 v[243:244], v[86:87], s[54:55], v[247:248]
	v_fma_f64 v[66:67], v[86:87], s[20:21], v[247:248]
	v_fma_f64 v[216:217], v[92:93], s[18:19], -v[216:217]
	v_fma_f64 v[247:248], v[86:87], s[48:49], v[96:97]
	v_fma_f64 v[86:87], v[86:87], s[16:17], v[96:97]
	;; [unrolled: 1-line block ×3, first 2 shown]
	v_fma_f64 v[92:93], v[92:93], s[26:27], -v[94:95]
	v_mul_f64 v[94:95], v[190:191], s[26:27]
	v_add_f64 v[74:75], v[208:209], v[74:75]
	v_fma_f64 v[208:209], v[148:149], s[6:7], v[218:219]
	v_mul_f64 v[249:250], v[192:193], s[0:1]
	v_fma_f64 v[218:219], v[148:149], s[0:1], v[218:219]
	v_fma_f64 v[60:61], v[82:83], s[50:51], v[241:242]
	v_add_f64 v[206:207], v[20:21], v[206:207]
	v_add_f64 v[64:65], v[20:21], v[64:65]
	v_mul_f64 v[84:85], v[84:85], s[36:37]
	v_add_f64 v[222:223], v[222:223], v[228:229]
	v_add_f64 v[233:234], v[20:21], v[233:234]
	v_add_f64 v[72:73], v[237:238], v[72:73]
	v_add_f64 v[70:71], v[20:21], v[70:71]
	v_mul_f64 v[237:238], v[202:203], s[34:35]
	v_fma_f64 v[251:252], v[188:189], s[24:25], v[231:232]
	v_fma_f64 v[231:232], v[188:189], s[24:25], -v[231:232]
	v_add_f64 v[62:63], v[22:23], v[243:244]
	v_add_f64 v[66:67], v[22:23], v[66:67]
	;; [unrolled: 1-line block ×3, first 2 shown]
	v_mul_f64 v[243:244], v[192:193], s[44:45]
	v_add_f64 v[96:97], v[20:21], v[96:97]
	v_add_f64 v[92:93], v[20:21], v[92:93]
	;; [unrolled: 1-line block ×3, first 2 shown]
	v_mul_f64 v[239:240], v[194:195], s[46:47]
	v_add_f64 v[68:69], v[208:209], v[68:69]
	v_fma_f64 v[208:209], v[82:83], s[42:43], v[241:242]
	v_fma_f64 v[241:242], v[98:99], s[48:49], v[94:95]
	;; [unrolled: 1-line block ×3, first 2 shown]
	v_add_f64 v[247:248], v[22:23], v[247:248]
	v_add_f64 v[86:87], v[22:23], v[86:87]
	;; [unrolled: 1-line block ×4, first 2 shown]
	v_fma_f64 v[226:227], v[188:189], s[46:47], v[253:254]
	v_add_f64 v[72:73], v[218:219], v[72:73]
	v_mul_f64 v[218:219], v[116:117], s[16:17]
	v_fma_f64 v[54:55], v[148:149], s[30:31], v[237:238]
	v_add_f64 v[233:234], v[251:252], v[233:234]
	v_fma_f64 v[251:252], v[180:181], s[4:5], v[249:250]
	v_add_f64 v[70:71], v[231:232], v[70:71]
	v_fma_f64 v[249:250], v[180:181], s[4:5], -v[249:250]
	v_add_f64 v[60:61], v[60:61], v[62:63]
	v_fma_f64 v[237:238], v[148:149], s[44:45], v[237:238]
	v_add_f64 v[222:223], v[245:246], v[222:223]
	v_mul_f64 v[231:232], v[204:205], s[4:5]
	v_fma_f64 v[62:63], v[180:181], s[34:35], v[243:244]
	v_mul_f64 v[245:246], v[198:199], s[8:9]
	v_mul_f64 v[228:229], v[188:189], s[18:19]
	v_add_f64 v[66:67], v[208:209], v[66:67]
	v_mul_f64 v[208:209], v[196:197], s[18:19]
	v_add_f64 v[68:69], v[241:242], v[68:69]
	v_fma_f64 v[241:242], v[100:101], s[50:51], v[239:240]
	v_fma_f64 v[239:240], v[100:101], s[42:43], v[239:240]
	v_fma_f64 v[253:254], v[188:189], s[46:47], -v[253:254]
	v_mul_f64 v[192:193], v[192:193], s[50:51]
	v_add_f64 v[64:65], v[226:227], v[64:65]
	v_add_f64 v[72:73], v[94:95], v[72:73]
	v_fma_f64 v[94:95], v[108:109], s[26:27], v[218:219]
	v_mul_f64 v[226:227], v[116:117], s[40:41]
	v_fma_f64 v[218:219], v[108:109], s[26:27], -v[218:219]
	v_add_f64 v[233:234], v[251:252], v[233:234]
	v_mul_f64 v[251:252], v[132:133], s[42:43]
	v_add_f64 v[70:71], v[249:250], v[70:71]
	v_mul_f64 v[249:250], v[204:205], s[18:19]
	v_add_f64 v[54:55], v[54:55], v[60:61]
	v_add_f64 v[222:223], v[235:236], v[222:223]
	v_mul_f64 v[204:205], v[204:205], s[28:29]
	v_mul_f64 v[60:61], v[132:133], s[16:17]
	;; [unrolled: 1-line block ×3, first 2 shown]
	v_add_f64 v[146:147], v[146:147], v[231:232]
	v_add_f64 v[66:67], v[237:238], v[66:67]
	v_mul_f64 v[237:238], v[180:181], s[26:27]
	v_add_f64 v[122:123], v[210:211], -v[124:125]
	v_add_f64 v[68:69], v[241:242], v[68:69]
	v_fma_f64 v[241:242], v[102:103], s[20:21], v[208:209]
	v_fma_f64 v[208:209], v[102:103], s[54:55], v[208:209]
	v_add_f64 v[124:125], v[228:229], -v[126:127]
	v_add_f64 v[62:63], v[62:63], v[64:65]
	v_add_f64 v[72:73], v[239:240], v[72:73]
	v_mul_f64 v[239:240], v[154:155], s[54:55]
	v_fma_f64 v[64:65], v[108:109], s[8:9], v[226:227]
	v_add_f64 v[212:213], v[214:215], v[212:213]
	v_add_f64 v[94:95], v[94:95], v[233:234]
	v_fma_f64 v[233:234], v[110:111], s[46:47], v[251:252]
	v_fma_f64 v[251:252], v[110:111], s[46:47], -v[251:252]
	v_add_f64 v[70:71], v[218:219], v[70:71]
	v_mul_f64 v[218:219], v[196:197], s[24:25]
	v_add_f64 v[50:51], v[50:51], v[54:55]
	v_fma_f64 v[54:55], v[100:101], s[48:49], v[48:49]
	v_fma_f64 v[48:49], v[100:101], s[16:17], v[48:49]
	v_add_f64 v[220:221], v[220:221], v[222:223]
	v_fma_f64 v[222:223], v[82:83], s[36:37], v[204:205]
	v_add_f64 v[52:53], v[52:53], v[66:67]
	v_mul_f64 v[66:67], v[154:155], s[38:39]
	v_mul_f64 v[214:215], v[108:109], s[18:19]
	v_fma_f64 v[82:83], v[82:83], s[52:53], v[204:205]
	v_add_f64 v[68:69], v[241:242], v[68:69]
	v_fma_f64 v[241:242], v[106:107], s[40:41], v[245:246]
	v_fma_f64 v[245:246], v[106:107], s[14:15], v[245:246]
	v_mul_f64 v[204:205], v[194:195], s[34:35]
	v_add_f64 v[72:73], v[208:209], v[72:73]
	v_mul_f64 v[208:209], v[202:203], s[28:29]
	v_mul_f64 v[202:203], v[202:203], s[46:47]
	v_add_f64 v[62:63], v[64:65], v[62:63]
	v_fma_f64 v[64:65], v[110:111], s[26:27], v[60:61]
	v_add_f64 v[94:95], v[233:234], v[94:95]
	v_fma_f64 v[233:234], v[114:115], s[18:19], v[239:240]
	;; [unrolled: 2-line block ×3, first 2 shown]
	v_fma_f64 v[239:240], v[114:115], s[18:19], -v[239:240]
	v_add_f64 v[50:51], v[54:55], v[50:51]
	v_mul_f64 v[54:55], v[190:191], s[18:19]
	v_add_f64 v[216:217], v[253:254], v[216:217]
	v_add_f64 v[86:87], v[222:223], v[86:87]
	;; [unrolled: 1-line block ×3, first 2 shown]
	v_mul_f64 v[52:53], v[108:109], s[46:47]
	v_fma_f64 v[243:244], v[180:181], s[34:35], -v[243:244]
	v_add_f64 v[162:163], v[235:236], -v[162:163]
	v_add_f64 v[140:141], v[140:141], v[224:225]
	v_add_f64 v[68:69], v[241:242], v[68:69]
	v_mul_f64 v[241:242], v[190:191], s[46:47]
	v_mul_f64 v[190:191], v[190:191], s[34:35]
	v_add_f64 v[22:23], v[146:147], v[22:23]
	v_add_f64 v[126:127], v[237:238], -v[130:131]
	v_fma_f64 v[222:223], v[148:149], s[50:51], v[202:203]
	v_add_f64 v[20:21], v[122:123], v[20:21]
	v_add_f64 v[62:63], v[64:65], v[62:63]
	v_fma_f64 v[64:65], v[114:115], s[24:25], v[66:67]
	v_add_f64 v[94:95], v[233:234], v[94:95]
	v_fma_f64 v[233:234], v[188:189], s[28:29], -v[84:85]
	v_fma_f64 v[84:85], v[188:189], s[28:29], v[84:85]
	v_add_f64 v[124:125], v[124:125], v[206:207]
	v_add_f64 v[50:51], v[251:252], v[50:51]
	v_mul_f64 v[251:252], v[194:195], s[24:25]
	v_mul_f64 v[116:117], v[116:117], s[44:45]
	;; [unrolled: 1-line block ×3, first 2 shown]
	v_fma_f64 v[218:219], v[102:103], s[38:39], v[218:219]
	v_add_f64 v[52:53], v[52:53], -v[156:157]
	v_add_f64 v[72:73], v[245:246], v[72:73]
	v_mul_f64 v[245:246], v[110:111], s[34:35]
	v_add_f64 v[70:71], v[239:240], v[70:71]
	v_mul_f64 v[239:240], v[110:111], s[24:25]
	v_mul_f64 v[253:254], v[196:197], s[34:35]
	v_fma_f64 v[156:157], v[98:99], s[44:45], v[190:191]
	v_add_f64 v[54:55], v[134:135], v[54:55]
	v_add_f64 v[22:23], v[140:141], v[22:23]
	;; [unrolled: 1-line block ×3, first 2 shown]
	v_add_f64 v[120:121], v[214:215], -v[128:129]
	v_add_f64 v[20:21], v[126:127], v[20:21]
	v_add_f64 v[62:63], v[64:65], v[62:63]
	v_mul_f64 v[64:65], v[196:197], s[28:29]
	v_add_f64 v[92:93], v[233:234], v[92:93]
	v_fma_f64 v[233:234], v[180:181], s[46:47], -v[192:193]
	v_fma_f64 v[180:181], v[180:181], s[46:47], v[192:193]
	v_add_f64 v[84:85], v[84:85], v[96:97]
	v_fma_f64 v[226:227], v[108:109], s[8:9], -v[226:227]
	v_add_f64 v[124:125], v[162:163], v[124:125]
	v_fma_f64 v[162:163], v[108:109], s[34:35], -v[116:117]
	v_add_f64 v[216:217], v[243:244], v[216:217]
	v_mul_f64 v[196:197], v[196:197], s[8:9]
	v_fma_f64 v[108:109], v[108:109], s[34:35], v[116:117]
	v_fma_f64 v[116:117], v[100:101], s[0:1], v[194:195]
	v_add_f64 v[48:49], v[218:219], v[48:49]
	v_mul_f64 v[218:219], v[114:115], s[34:35]
	v_mul_f64 v[237:238], v[198:199], s[28:29]
	v_fma_f64 v[60:61], v[110:111], s[26:27], -v[60:61]
	v_fma_f64 v[66:67], v[114:115], s[24:25], -v[66:67]
	v_add_f64 v[22:23], v[54:55], v[22:23]
	v_add_f64 v[86:87], v[156:157], v[86:87]
	;; [unrolled: 1-line block ×3, first 2 shown]
	v_add_f64 v[142:143], v[239:240], -v[166:167]
	v_add_f64 v[54:55], v[245:246], -v[136:137]
	v_add_f64 v[20:21], v[120:121], v[20:21]
	v_add_f64 v[16:17], v[24:25], v[16:17]
	;; [unrolled: 1-line block ×7, first 2 shown]
	v_fma_f64 v[148:149], v[148:149], s[42:43], v[202:203]
	v_add_f64 v[52:53], v[226:227], v[216:217]
	v_add_f64 v[82:83], v[82:83], v[247:248]
	;; [unrolled: 1-line block ×3, first 2 shown]
	v_mul_f64 v[132:133], v[132:133], s[0:1]
	v_fma_f64 v[98:99], v[98:99], s[30:31], v[190:191]
	v_add_f64 v[124:125], v[218:219], -v[158:159]
	v_fma_f64 v[140:141], v[106:107], s[36:37], v[237:238]
	v_fma_f64 v[237:238], v[106:107], s[52:53], v[237:238]
	v_mul_f64 v[188:189], v[114:115], s[28:29]
	v_add_f64 v[130:131], v[138:139], v[204:205]
	v_add_f64 v[86:87], v[116:117], v[86:87]
	v_fma_f64 v[100:101], v[100:101], s[6:7], v[194:195]
	v_mul_f64 v[249:250], v[118:119], s[24:25]
	v_mul_f64 v[202:203], v[198:199], s[24:25]
	v_add_f64 v[20:21], v[54:55], v[20:21]
	v_fma_f64 v[54:55], v[102:103], s[40:41], v[196:197]
	v_add_f64 v[46:47], v[162:163], v[92:93]
	v_mul_f64 v[92:93], v[198:199], s[18:19]
	v_add_f64 v[84:85], v[108:109], v[84:85]
	v_fma_f64 v[108:109], v[102:103], s[14:15], v[196:197]
	v_add_f64 v[28:29], v[142:143], v[44:45]
	v_add_f64 v[74:75], v[184:185], v[74:75]
	;; [unrolled: 1-line block ×4, first 2 shown]
	v_mul_f64 v[148:149], v[154:155], s[14:15]
	v_fma_f64 v[154:155], v[110:111], s[4:5], -v[132:133]
	v_fma_f64 v[110:111], v[110:111], s[4:5], v[132:133]
	v_add_f64 v[64:65], v[150:151], v[64:65]
	v_mul_f64 v[192:193], v[118:119], s[26:27]
	v_mul_f64 v[96:97], v[198:199], s[26:27]
	v_add_f64 v[128:129], v[188:189], -v[144:145]
	v_add_f64 v[22:23], v[130:131], v[22:23]
	v_add_f64 v[120:121], v[172:173], v[253:254]
	v_mul_f64 v[122:123], v[170:171], s[52:53]
	v_mul_f64 v[184:185], v[170:171], s[14:15]
	v_mul_f64 v[210:211], v[112:113], s[46:47]
	v_mul_f64 v[222:223], v[200:201], s[46:47]
	v_mul_f64 v[134:135], v[200:201], s[4:5]
	v_mul_f64 v[233:234], v[112:113], s[8:9]
	v_fma_f64 v[102:103], v[106:107], s[20:21], v[92:93]
	v_mul_f64 v[235:236], v[200:201], s[8:9]
	v_add_f64 v[86:87], v[108:109], v[86:87]
	v_add_f64 v[24:25], v[124:125], v[28:29]
	;; [unrolled: 1-line block ×5, first 2 shown]
	v_fma_f64 v[48:49], v[106:107], s[54:55], v[92:93]
	v_add_f64 v[82:83], v[98:99], v[82:83]
	v_mul_f64 v[98:99], v[170:171], s[20:21]
	v_fma_f64 v[116:117], v[114:115], s[8:9], -v[148:149]
	v_add_f64 v[30:31], v[154:155], v[46:47]
	v_add_f64 v[84:85], v[110:111], v[84:85]
	;; [unrolled: 1-line block ×4, first 2 shown]
	v_add_f64 v[64:65], v[249:250], -v[152:153]
	v_add_f64 v[96:97], v[176:177], v[96:97]
	v_add_f64 v[110:111], v[192:193], -v[168:169]
	v_mul_f64 v[52:53], v[200:201], s[24:25]
	v_mul_f64 v[214:215], v[174:175], s[0:1]
	v_fma_f64 v[46:47], v[118:119], s[28:29], -v[122:123]
	v_mul_f64 v[228:229], v[200:201], s[28:29]
	v_mul_f64 v[208:209], v[174:175], s[36:37]
	v_fma_f64 v[182:183], v[118:119], s[8:9], v[184:185]
	v_add_f64 v[86:87], v[102:103], v[86:87]
	s_clause 0x3
	buffer_load_dword v102, off, s[56:59], 0
	buffer_load_dword v103, off, s[56:59], 0 offset:4
	buffer_load_dword v106, off, s[56:59], 0 offset:8
	buffer_load_dword v107, off, s[56:59], 0 offset:12
	v_add_f64 v[74:75], v[186:187], v[74:75]
	v_fma_f64 v[184:185], v[118:119], s[8:9], -v[184:185]
	v_mul_f64 v[247:248], v[200:201], s[26:27]
	v_add_f64 v[60:61], v[100:101], v[82:83]
	v_fma_f64 v[100:101], v[114:115], s[8:9], v[148:149]
	v_add_f64 v[114:115], v[160:161], v[202:203]
	v_mul_f64 v[82:83], v[174:175], s[38:39]
	v_fma_f64 v[108:109], v[118:119], s[18:19], -v[98:99]
	v_add_f64 v[26:27], v[116:117], v[30:31]
	v_mul_f64 v[231:232], v[174:175], s[48:49]
	v_fma_f64 v[126:127], v[118:119], s[28:29], v[122:123]
	v_add_f64 v[14:15], v[18:19], v[14:15]
	v_add_f64 v[18:19], v[16:17], v[12:13]
	v_fma_f64 v[30:31], v[104:105], s[0:1], v[134:135]
	v_add_f64 v[64:65], v[64:65], v[20:21]
	v_add_f64 v[110:111], v[110:111], v[24:25]
	v_fma_f64 v[92:93], v[104:105], s[38:39], v[52:53]
	v_fma_f64 v[66:67], v[112:113], s[4:5], -v[214:215]
	v_fma_f64 v[206:207], v[104:105], s[52:53], v[228:229]
	v_fma_f64 v[241:242], v[112:113], s[28:29], v[208:209]
	;; [unrolled: 1-line block ×3, first 2 shown]
	v_fma_f64 v[208:209], v[112:113], s[28:29], -v[208:209]
	v_add_f64 v[74:75], v[156:157], v[74:75]
	v_add_f64 v[70:71], v[184:185], v[70:71]
	v_fma_f64 v[224:225], v[104:105], s[16:17], v[247:248]
	v_add_f64 v[54:55], v[54:55], v[60:61]
	v_fma_f64 v[60:61], v[118:119], s[18:19], v[98:99]
	v_add_f64 v[84:85], v[100:101], v[84:85]
	v_add_f64 v[22:23], v[114:115], v[22:23]
	;; [unrolled: 1-line block ×3, first 2 shown]
	v_fma_f64 v[98:99], v[112:113], s[24:25], -v[82:83]
	v_add_f64 v[108:109], v[108:109], v[26:27]
	v_add_f64 v[114:115], v[46:47], v[28:29]
	v_fma_f64 v[146:147], v[112:113], s[26:27], v[231:232]
	v_fma_f64 v[247:248], v[104:105], s[48:49], v[247:248]
	v_fma_f64 v[231:232], v[112:113], s[26:27], -v[231:232]
	v_add_f64 v[94:95], v[182:183], v[94:95]
	v_fma_f64 v[116:117], v[104:105], s[6:7], v[134:135]
	v_add_f64 v[118:119], v[140:141], v[50:51]
	v_add_f64 v[122:123], v[126:127], v[62:63]
	v_fma_f64 v[104:105], v[104:105], s[22:23], v[52:53]
	v_fma_f64 v[82:83], v[112:113], s[24:25], v[82:83]
	v_add_f64 v[50:51], v[14:15], v[10:11]
	v_add_f64 v[20:21], v[30:31], v[44:45]
	;; [unrolled: 1-line block ×3, first 2 shown]
	v_fma_f64 v[120:121], v[112:113], s[4:5], v[214:215]
	v_add_f64 v[24:25], v[92:93], v[86:87]
	v_add_f64 v[124:125], v[48:49], v[54:55]
	;; [unrolled: 1-line block ×13, first 2 shown]
	v_lshl_add_u32 v8, v78, 8, v230
	v_add_f64 v[66:67], v[116:117], v[118:119]
	v_add_f64 v[74:75], v[96:97], v[74:75]
	v_add_f64 v[96:97], v[233:234], -v[164:165]
	v_add_f64 v[70:71], v[104:105], v[124:125]
	v_add_f64 v[68:69], v[82:83], v[84:85]
	;; [unrolled: 1-line block ×4, first 2 shown]
	s_waitcnt vmcnt(2)
	v_add_f64 v[102:103], v[102:103], v[222:223]
	s_waitcnt vmcnt(0)
	v_add_f64 v[106:107], v[210:211], -v[106:107]
	v_add_f64 v[46:47], v[102:103], v[22:23]
	v_add_f64 v[44:45], v[106:107], v[64:65]
	;; [unrolled: 1-line block ×4, first 2 shown]
	ds_write_b128 v8, v[48:51]
	ds_write_b128 v8, v[44:47] offset:16
	ds_write_b128 v8, v[26:29] offset:32
	;; [unrolled: 1-line block ×16, first 2 shown]
.LBB0_15:
	s_or_b32 exec_lo, exec_lo, s33
	v_and_b32_e32 v8, 0xff, v78
	v_add_nc_u32_e32 v74, 0xcc, v78
	v_mov_b32_e32 v9, 0xf0f1
	v_add_nc_u32_e32 v75, 0x66, v78
	v_add_nc_u32_e32 v10, 0x132, v78
	v_mul_lo_u16 v8, 0xf1, v8
	v_add_nc_u32_e32 v24, 0x198, v78
	v_mov_b32_e32 v82, 5
	v_and_b32_e32 v72, 0xff, v75
	v_mul_u32_u24_sdwa v11, v10, v9 dst_sel:DWORD dst_unused:UNUSED_PAD src0_sel:WORD_0 src1_sel:DWORD
	v_lshrrev_b16 v73, 12, v8
	v_mul_u32_u24_sdwa v8, v74, v9 dst_sel:DWORD dst_unused:UNUSED_PAD src0_sel:WORD_0 src1_sel:DWORD
	v_mul_u32_u24_sdwa v9, v24, v9 dst_sel:DWORD dst_unused:UNUSED_PAD src0_sel:WORD_0 src1_sel:DWORD
	s_load_dwordx2 s[2:3], s[2:3], 0x0
	v_lshrrev_b32_e32 v120, 20, v11
	v_mul_lo_u16 v12, v73, 17
	v_lshrrev_b32_e32 v119, 20, v8
	v_mul_lo_u16 v8, 0xf1, v72
	v_lshrrev_b32_e32 v124, 20, v9
	s_waitcnt lgkmcnt(0)
	s_waitcnt_vscnt null, 0x0
	v_sub_nc_u16 v121, v78, v12
	v_mul_lo_u16 v11, v119, 17
	v_lshrrev_b16 v122, 12, v8
	v_mul_lo_u16 v8, v120, 17
	v_mul_lo_u16 v25, v124, 17
	v_lshlrev_b32_sdwa v12, v82, v121 dst_sel:DWORD dst_unused:UNUSED_PAD src0_sel:DWORD src1_sel:BYTE_0
	v_sub_nc_u16 v123, v74, v11
	v_mul_lo_u16 v16, v122, 17
	v_sub_nc_u16 v125, v10, v8
	v_sub_nc_u16 v140, v24, v25
	s_barrier
	v_lshlrev_b32_sdwa v20, v82, v123 dst_sel:DWORD dst_unused:UNUSED_PAD src0_sel:DWORD src1_sel:WORD_0
	v_sub_nc_u16 v139, v75, v16
	v_lshlrev_b32_sdwa v28, v82, v125 dst_sel:DWORD dst_unused:UNUSED_PAD src0_sel:DWORD src1_sel:WORD_0
	buffer_gl0_inv
	s_clause 0x1
	global_load_dwordx4 v[8:11], v12, s[12:13]
	global_load_dwordx4 v[12:15], v12, s[12:13] offset:16
	v_lshlrev_b32_sdwa v36, v82, v139 dst_sel:DWORD dst_unused:UNUSED_PAD src0_sel:DWORD src1_sel:BYTE_0
	v_lshlrev_b32_sdwa v44, v82, v140 dst_sel:DWORD dst_unused:UNUSED_PAD src0_sel:DWORD src1_sel:WORD_0
	s_clause 0x7
	global_load_dwordx4 v[16:19], v20, s[12:13] offset:16
	global_load_dwordx4 v[20:23], v20, s[12:13]
	global_load_dwordx4 v[24:27], v28, s[12:13]
	global_load_dwordx4 v[28:31], v28, s[12:13] offset:16
	global_load_dwordx4 v[32:35], v36, s[12:13]
	global_load_dwordx4 v[36:39], v36, s[12:13] offset:16
	;; [unrolled: 2-line block ×3, first 2 shown]
	ds_read_b128 v[48:51], v230 offset:8160
	ds_read_b128 v[52:55], v230
	ds_read_b128 v[56:59], v230 offset:1632
	ds_read_b128 v[60:63], v230 offset:16320
	;; [unrolled: 1-line block ×13, first 2 shown]
	v_mov_b32_e32 v126, 0x330
	v_mov_b32_e32 v79, 4
	v_mul_u32_u24_e32 v141, 0x330, v119
	v_mul_u32_u24_e32 v142, 0x330, v120
	;; [unrolled: 1-line block ×3, first 2 shown]
	v_mul_u32_u24_sdwa v144, v122, v126 dst_sel:DWORD dst_unused:UNUSED_PAD src0_sel:WORD_0 src1_sel:DWORD
	v_lshlrev_b32_sdwa v145, v79, v121 dst_sel:DWORD dst_unused:UNUSED_PAD src0_sel:DWORD src1_sel:BYTE_0
	v_mul_u32_u24_sdwa v73, v73, v126 dst_sel:DWORD dst_unused:UNUSED_PAD src0_sel:WORD_0 src1_sel:DWORD
	v_lshlrev_b32_sdwa v146, v79, v123 dst_sel:DWORD dst_unused:UNUSED_PAD src0_sel:DWORD src1_sel:WORD_0
	v_lshlrev_b32_sdwa v147, v79, v125 dst_sel:DWORD dst_unused:UNUSED_PAD src0_sel:DWORD src1_sel:WORD_0
	s_mov_b32 s6, 0xe8584caa
	s_mov_b32 s7, 0x3febb67a
	;; [unrolled: 1-line block ×4, first 2 shown]
	v_lshlrev_b32_sdwa v140, v79, v140 dst_sel:DWORD dst_unused:UNUSED_PAD src0_sel:DWORD src1_sel:WORD_0
	v_add3_u32 v73, 0, v73, v145
	s_waitcnt vmcnt(0) lgkmcnt(0)
	s_barrier
	buffer_gl0_inv
	v_cmp_gt_u32_e64 s0, 51, v78
	v_mul_f64 v[119:120], v[50:51], v[10:11]
	v_mul_f64 v[10:11], v[48:49], v[10:11]
	;; [unrolled: 1-line block ×20, first 2 shown]
	v_fma_f64 v[48:49], v[48:49], v[8:9], -v[119:120]
	v_fma_f64 v[8:9], v[50:51], v[8:9], v[10:11]
	v_fma_f64 v[10:11], v[60:61], v[12:13], -v[121:122]
	v_fma_f64 v[12:13], v[62:63], v[12:13], v[14:15]
	;; [unrolled: 2-line block ×5, first 2 shown]
	v_fma_f64 v[24:25], v[68:69], v[32:33], -v[131:132]
	v_fma_f64 v[62:63], v[64:65], v[36:37], -v[133:134]
	v_fma_f64 v[26:27], v[70:71], v[32:33], v[34:35]
	v_fma_f64 v[34:35], v[66:67], v[36:37], v[38:39]
	v_fma_f64 v[60:61], v[99:100], v[28:29], -v[129:130]
	v_fma_f64 v[30:31], v[101:102], v[28:29], v[30:31]
	v_fma_f64 v[28:29], v[111:112], v[40:41], -v[135:136]
	;; [unrolled: 2-line block ×3, first 2 shown]
	v_fma_f64 v[38:39], v[117:118], v[44:45], v[46:47]
	v_lshlrev_b32_sdwa v129, v79, v139 dst_sel:DWORD dst_unused:UNUSED_PAD src0_sel:DWORD src1_sel:BYTE_0
	v_add_f64 v[40:41], v[52:53], v[48:49]
	v_add_f64 v[46:47], v[54:55], v[8:9]
	;; [unrolled: 1-line block ×3, first 2 shown]
	v_add_f64 v[44:45], v[8:9], -v[12:13]
	v_add_f64 v[8:9], v[8:9], v[12:13]
	v_add_f64 v[70:71], v[89:90], v[20:21]
	;; [unrolled: 1-line block ×5, first 2 shown]
	v_add_f64 v[48:49], v[48:49], -v[10:11]
	v_add_f64 v[121:122], v[56:57], v[24:25]
	v_add_f64 v[95:96], v[24:25], v[62:63]
	;; [unrolled: 1-line block ×9, first 2 shown]
	v_add_f64 v[115:116], v[32:33], -v[38:39]
	v_add_f64 v[32:33], v[32:33], v[38:39]
	v_add_f64 v[68:69], v[20:21], -v[16:17]
	v_add_f64 v[101:102], v[22:23], -v[30:31]
	v_add_f64 v[107:108], v[93:94], v[22:23]
	v_fma_f64 v[42:43], v[42:43], -0.5, v[52:53]
	v_add_f64 v[125:126], v[26:27], -v[34:35]
	v_fma_f64 v[52:53], v[8:9], -0.5, v[54:55]
	v_add_f64 v[127:128], v[24:25], -v[62:63]
	v_fma_f64 v[54:55], v[66:67], -0.5, v[87:88]
	v_add_f64 v[22:23], v[46:47], v[12:13]
	v_add_f64 v[64:65], v[87:88], v[14:15]
	v_add_f64 v[14:15], v[14:15], -v[50:51]
	v_fma_f64 v[66:67], v[83:84], -0.5, v[89:90]
	v_fma_f64 v[56:57], v[95:96], -0.5, v[56:57]
	v_add_f64 v[18:19], v[18:19], -v[60:61]
	v_fma_f64 v[12:13], v[99:100], -0.5, v[58:59]
	v_add_f64 v[26:27], v[70:71], v[16:17]
	v_fma_f64 v[16:17], v[97:98], -0.5, v[91:92]
	v_fma_f64 v[70:71], v[109:110], -0.5, v[93:94]
	v_add_f64 v[119:120], v[28:29], -v[36:37]
	v_add_f64 v[28:29], v[85:86], v[60:61]
	v_fma_f64 v[83:84], v[113:114], -0.5, v[103:104]
	v_fma_f64 v[85:86], v[32:33], -0.5, v[105:106]
	v_add_f64 v[20:21], v[40:41], v[10:11]
	v_add_f64 v[8:9], v[111:112], v[36:37]
	v_add_f64 v[10:11], v[117:118], v[38:39]
	v_fma_f64 v[36:37], v[44:45], s[6:7], v[42:43]
	v_fma_f64 v[40:41], v[44:45], s[4:5], v[42:43]
	;; [unrolled: 1-line block ×4, first 2 shown]
	v_add_f64 v[32:33], v[121:122], v[62:63]
	v_add_f64 v[34:35], v[123:124], v[34:35]
	v_fma_f64 v[44:45], v[68:69], s[6:7], v[54:55]
	v_fma_f64 v[48:49], v[68:69], s[4:5], v[54:55]
	v_add_f64 v[24:25], v[64:65], v[50:51]
	v_fma_f64 v[52:53], v[125:126], s[6:7], v[56:57]
	v_fma_f64 v[56:57], v[125:126], s[4:5], v[56:57]
	;; [unrolled: 1-line block ×6, first 2 shown]
	v_add_f64 v[30:31], v[107:108], v[30:31]
	v_fma_f64 v[60:61], v[101:102], s[6:7], v[16:17]
	v_fma_f64 v[62:63], v[18:19], s[4:5], v[70:71]
	;; [unrolled: 1-line block ×8, first 2 shown]
	v_add3_u32 v71, 0, v144, v129
	v_add3_u32 v68, 0, v141, v146
	;; [unrolled: 1-line block ×4, first 2 shown]
	ds_write_b128 v73, v[20:23]
	ds_write_b128 v73, v[36:39] offset:272
	ds_write_b128 v73, v[40:43] offset:544
	ds_write_b128 v71, v[32:35]
	ds_write_b128 v71, v[52:55] offset:272
	ds_write_b128 v71, v[56:59] offset:544
	;; [unrolled: 3-line block ×5, first 2 shown]
	s_waitcnt lgkmcnt(0)
	s_barrier
	buffer_gl0_inv
	ds_read_b128 v[28:31], v230
	ds_read_b128 v[24:27], v230 offset:1632
	ds_read_b128 v[52:55], v230 offset:4080
	;; [unrolled: 1-line block ×11, first 2 shown]
                                        ; implicit-def: $vgpr22_vgpr23
	s_and_saveexec_b32 s1, s0
	s_cbranch_execz .LBB0_17
; %bb.16:
	ds_read_b128 v[8:11], v230 offset:3264
	ds_read_b128 v[12:15], v230 offset:7344
	;; [unrolled: 1-line block ×6, first 2 shown]
.LBB0_17:
	s_or_b32 exec_lo, exec_lo, s1
	v_subrev_nc_u32_e32 v73, 51, v78
	v_mul_lo_u16 v72, 0xa1, v72
	v_cndmask_b32_e64 v132, v73, v78, s0
	v_mov_b32_e32 v73, 0
	v_lshrrev_b16 v133, 13, v72
	v_mul_i32_i24_e32 v72, 5, v132
	v_mul_lo_u16 v85, v133, 51
	v_lshlrev_b64 v[83:84], 4, v[72:73]
	v_sub_nc_u16 v72, v75, v85
	v_add_co_u32 v110, s1, s12, v83
	v_add_co_ci_u32_e64 v111, s1, s13, v84, s1
	v_mul_u32_u24_sdwa v90, v72, v82 dst_sel:DWORD dst_unused:UNUSED_PAD src0_sel:BYTE_0 src1_sel:DWORD
	v_cmp_lt_u32_e64 s1, 50, v78
	v_lshlrev_b32_sdwa v72, v79, v72 dst_sel:DWORD dst_unused:UNUSED_PAD src0_sel:DWORD src1_sel:BYTE_0
	s_clause 0x1
	global_load_dwordx4 v[82:85], v[110:111], off offset:576
	global_load_dwordx4 v[86:89], v[110:111], off offset:608
	v_lshlrev_b32_e32 v118, 4, v90
	s_clause 0x7
	global_load_dwordx4 v[90:93], v118, s[12:13] offset:576
	global_load_dwordx4 v[94:97], v118, s[12:13] offset:608
	global_load_dwordx4 v[98:101], v[110:111], off offset:544
	global_load_dwordx4 v[102:105], v118, s[12:13] offset:544
	global_load_dwordx4 v[106:109], v[110:111], off offset:560
	global_load_dwordx4 v[110:113], v[110:111], off offset:592
	global_load_dwordx4 v[114:117], v118, s[12:13] offset:560
	global_load_dwordx4 v[118:121], v118, s[12:13] offset:592
	s_waitcnt vmcnt(0) lgkmcnt(0)
	s_barrier
	buffer_gl0_inv
	v_mul_f64 v[122:123], v[66:67], v[84:85]
	v_mul_f64 v[84:85], v[64:65], v[84:85]
	;; [unrolled: 1-line block ×10, first 2 shown]
	v_fma_f64 v[64:65], v[64:65], v[82:83], -v[122:123]
	v_fma_f64 v[66:67], v[66:67], v[82:83], v[84:85]
	v_fma_f64 v[70:71], v[70:71], v[86:87], v[124:125]
	v_fma_f64 v[68:69], v[68:69], v[86:87], -v[88:89]
	v_mul_f64 v[82:83], v[50:51], v[104:105]
	v_mul_f64 v[84:85], v[48:49], v[104:105]
	v_fma_f64 v[56:57], v[56:57], v[90:91], -v[126:127]
	v_fma_f64 v[58:59], v[58:59], v[90:91], v[92:93]
	v_fma_f64 v[62:63], v[62:63], v[94:95], v[128:129]
	v_fma_f64 v[60:61], v[60:61], v[94:95], -v[96:97]
	v_mul_f64 v[86:87], v[42:43], v[108:109]
	v_mul_f64 v[88:89], v[40:41], v[108:109]
	;; [unrolled: 1-line block ×4, first 2 shown]
	v_fma_f64 v[52:53], v[52:53], v[98:99], -v[130:131]
	v_fma_f64 v[54:55], v[54:55], v[98:99], v[100:101]
	v_mul_f64 v[98:99], v[34:35], v[116:117]
	v_mul_f64 v[100:101], v[32:33], v[116:117]
	;; [unrolled: 1-line block ×4, first 2 shown]
	v_add_f64 v[94:95], v[66:67], v[70:71]
	v_add_f64 v[96:97], v[64:65], v[68:69]
	v_fma_f64 v[48:49], v[48:49], v[102:103], -v[82:83]
	v_fma_f64 v[50:51], v[50:51], v[102:103], v[84:85]
	v_add_f64 v[82:83], v[58:59], v[62:63]
	v_add_f64 v[84:85], v[56:57], v[60:61]
	v_fma_f64 v[40:41], v[40:41], v[106:107], -v[86:87]
	v_fma_f64 v[42:43], v[42:43], v[106:107], v[88:89]
	v_fma_f64 v[44:45], v[44:45], v[110:111], -v[90:91]
	v_fma_f64 v[46:47], v[46:47], v[110:111], v[92:93]
	v_add_f64 v[86:87], v[66:67], -v[70:71]
	v_add_f64 v[88:89], v[64:65], -v[68:69]
	v_fma_f64 v[32:33], v[32:33], v[114:115], -v[98:99]
	v_fma_f64 v[34:35], v[34:35], v[114:115], v[100:101]
	v_fma_f64 v[36:37], v[36:37], v[118:119], -v[104:105]
	v_fma_f64 v[38:39], v[38:39], v[118:119], v[108:109]
	v_cndmask_b32_e64 v114, 0, 0x1320, s1
	v_fma_f64 v[90:91], v[94:95], -0.5, v[54:55]
	v_fma_f64 v[92:93], v[96:97], -0.5, v[52:53]
	v_add_f64 v[94:95], v[58:59], -v[62:63]
	v_add_f64 v[96:97], v[56:57], -v[60:61]
	v_add_f64 v[52:53], v[52:53], v[64:65]
	v_add_f64 v[54:55], v[54:55], v[66:67]
	v_fma_f64 v[82:83], v[82:83], -0.5, v[50:51]
	v_fma_f64 v[84:85], v[84:85], -0.5, v[48:49]
	v_add_f64 v[100:101], v[28:29], v[40:41]
	v_add_f64 v[48:49], v[48:49], v[56:57]
	;; [unrolled: 1-line block ×4, first 2 shown]
	v_add_f64 v[104:105], v[42:43], -v[46:47]
	v_add_f64 v[42:43], v[30:31], v[42:43]
	v_add_f64 v[40:41], v[40:41], -v[44:45]
	v_add_f64 v[64:65], v[24:25], v[32:33]
	v_add_f64 v[66:67], v[26:27], v[34:35]
	;; [unrolled: 1-line block ×3, first 2 shown]
	v_fma_f64 v[106:107], v[88:89], s[4:5], v[90:91]
	v_fma_f64 v[108:109], v[86:87], s[4:5], v[92:93]
	;; [unrolled: 1-line block ×4, first 2 shown]
	v_add_f64 v[90:91], v[32:33], v[36:37]
	v_add_f64 v[92:93], v[34:35], v[38:39]
	v_fma_f64 v[110:111], v[96:97], s[4:5], v[82:83]
	v_fma_f64 v[112:113], v[94:95], s[4:5], v[84:85]
	;; [unrolled: 1-line block ×4, first 2 shown]
	v_fma_f64 v[28:29], v[98:99], -0.5, v[28:29]
	v_fma_f64 v[30:31], v[102:103], -0.5, v[30:31]
	v_add_f64 v[34:35], v[34:35], -v[38:39]
	v_add_f64 v[32:33], v[32:33], -v[36:37]
	v_add_f64 v[42:43], v[42:43], v[46:47]
	v_add_f64 v[44:45], v[100:101], v[44:45]
	;; [unrolled: 1-line block ×8, first 2 shown]
	v_mul_f64 v[56:57], v[106:107], s[6:7]
	v_mul_f64 v[58:59], v[108:109], -0.5
	v_mul_f64 v[94:95], v[86:87], s[4:5]
	v_mul_f64 v[96:97], v[88:89], -0.5
	v_fma_f64 v[24:25], v[90:91], -0.5, v[24:25]
	v_fma_f64 v[26:27], v[92:93], -0.5, v[26:27]
	v_mul_f64 v[46:47], v[110:111], s[6:7]
	v_mul_f64 v[90:91], v[112:113], -0.5
	v_mul_f64 v[92:93], v[84:85], s[4:5]
	v_mul_f64 v[98:99], v[82:83], -0.5
	v_fma_f64 v[60:61], v[104:105], s[6:7], v[28:29]
	v_fma_f64 v[64:65], v[40:41], s[4:5], v[30:31]
	;; [unrolled: 1-line block ×4, first 2 shown]
	v_add_f64 v[28:29], v[44:45], -v[52:53]
	v_add_f64 v[30:31], v[42:43], -v[54:55]
	v_fma_f64 v[56:57], v[86:87], 0.5, v[56:57]
	v_fma_f64 v[58:59], v[88:89], s[6:7], v[58:59]
	v_fma_f64 v[68:69], v[106:107], 0.5, v[94:95]
	v_fma_f64 v[70:71], v[108:109], s[4:5], v[96:97]
	v_fma_f64 v[86:87], v[34:35], s[6:7], v[24:25]
	;; [unrolled: 1-line block ×3, first 2 shown]
	v_fma_f64 v[84:85], v[84:85], 0.5, v[46:47]
	v_fma_f64 v[82:83], v[82:83], s[6:7], v[90:91]
	v_fma_f64 v[90:91], v[110:111], 0.5, v[92:93]
	v_fma_f64 v[88:89], v[34:35], s[4:5], v[24:25]
	v_fma_f64 v[96:97], v[32:33], s[6:7], v[26:27]
	;; [unrolled: 1-line block ×3, first 2 shown]
	v_add_f64 v[24:25], v[44:45], v[52:53]
	v_add_f64 v[26:27], v[42:43], v[54:55]
	;; [unrolled: 1-line block ×4, first 2 shown]
	v_add_f64 v[36:37], v[36:37], -v[48:49]
	v_add_f64 v[38:39], v[38:39], -v[50:51]
	v_mov_b32_e32 v98, 0x1320
	v_lshlrev_b32_e32 v99, 4, v132
	v_add_f64 v[40:41], v[60:61], v[56:57]
	v_add_f64 v[44:45], v[62:63], v[58:59]
	;; [unrolled: 1-line block ×4, first 2 shown]
	v_add_f64 v[48:49], v[60:61], -v[56:57]
	v_add_f64 v[50:51], v[64:65], -v[68:69]
	;; [unrolled: 1-line block ×4, first 2 shown]
	v_add_f64 v[56:57], v[86:87], v[84:85]
	v_add_f64 v[58:59], v[94:95], v[90:91]
	;; [unrolled: 1-line block ×4, first 2 shown]
	v_add_f64 v[64:65], v[86:87], -v[84:85]
	v_add_f64 v[66:67], v[94:95], -v[90:91]
	;; [unrolled: 1-line block ×4, first 2 shown]
	v_mul_u32_u24_sdwa v82, v133, v98 dst_sel:DWORD dst_unused:UNUSED_PAD src0_sel:WORD_0 src1_sel:DWORD
	v_add3_u32 v79, 0, v114, v99
	v_add3_u32 v72, 0, v82, v72
	ds_write_b128 v79, v[24:27]
	ds_write_b128 v79, v[28:31] offset:2448
	ds_write_b128 v79, v[40:43] offset:816
	;; [unrolled: 1-line block ×5, first 2 shown]
	ds_write_b128 v72, v[32:35]
	ds_write_b128 v72, v[36:39] offset:2448
	ds_write_b128 v72, v[56:59] offset:816
	;; [unrolled: 1-line block ×5, first 2 shown]
	s_and_saveexec_b32 s1, s0
	s_cbranch_execz .LBB0_19
; %bb.18:
	v_mov_b32_e32 v24, 0xa0a1
	s_mov_b32 s4, 0xe8584caa
	s_mov_b32 s5, 0x3febb67a
	;; [unrolled: 1-line block ×4, first 2 shown]
	v_mul_u32_u24_sdwa v24, v74, v24 dst_sel:DWORD dst_unused:UNUSED_PAD src0_sel:WORD_0 src1_sel:DWORD
	v_lshrrev_b32_e32 v24, 21, v24
	v_mul_lo_u16 v24, v24, 51
	v_sub_nc_u16 v24, v74, v24
	v_and_b32_e32 v50, 0xffff, v24
	v_mul_u32_u24_e32 v24, 5, v50
	v_lshlrev_b32_e32 v40, 4, v24
	s_clause 0x4
	global_load_dwordx4 v[24:27], v40, s[12:13] offset:576
	global_load_dwordx4 v[28:31], v40, s[12:13] offset:608
	;; [unrolled: 1-line block ×5, first 2 shown]
	s_waitcnt vmcnt(4)
	v_mul_f64 v[44:45], v[6:7], v[26:27]
	v_mul_f64 v[26:27], v[4:5], v[26:27]
	s_waitcnt vmcnt(3)
	v_mul_f64 v[46:47], v[20:21], v[30:31]
	v_mul_f64 v[30:31], v[22:23], v[30:31]
	;; [unrolled: 3-line block ×3, first 2 shown]
	v_fma_f64 v[4:5], v[4:5], v[24:25], -v[44:45]
	v_fma_f64 v[6:7], v[6:7], v[24:25], v[26:27]
	v_fma_f64 v[22:23], v[22:23], v[28:29], v[46:47]
	v_fma_f64 v[20:21], v[20:21], v[28:29], -v[30:31]
	s_waitcnt vmcnt(1)
	v_mul_f64 v[24:25], v[18:19], v[38:39]
	v_mul_f64 v[26:27], v[16:17], v[38:39]
	s_waitcnt vmcnt(0)
	v_mul_f64 v[28:29], v[0:1], v[42:43]
	v_fma_f64 v[12:13], v[12:13], v[32:33], -v[48:49]
	v_fma_f64 v[14:15], v[14:15], v[32:33], v[34:35]
	v_mul_f64 v[34:35], v[2:3], v[42:43]
	v_add_f64 v[30:31], v[6:7], v[22:23]
	v_add_f64 v[32:33], v[4:5], v[20:21]
	v_fma_f64 v[16:17], v[16:17], v[36:37], -v[24:25]
	v_fma_f64 v[18:19], v[18:19], v[36:37], v[26:27]
	v_fma_f64 v[2:3], v[2:3], v[40:41], v[28:29]
	v_add_f64 v[24:25], v[6:7], -v[22:23]
	v_add_f64 v[26:27], v[4:5], -v[20:21]
	v_fma_f64 v[0:1], v[0:1], v[40:41], -v[34:35]
	v_add_f64 v[6:7], v[14:15], v[6:7]
	v_add_f64 v[4:5], v[12:13], v[4:5]
	v_fma_f64 v[28:29], v[30:31], -0.5, v[14:15]
	v_fma_f64 v[30:31], v[32:33], -0.5, v[12:13]
	v_add_f64 v[14:15], v[8:9], v[16:17]
	v_add_f64 v[32:33], v[18:19], v[2:3]
	v_add_f64 v[12:13], v[18:19], -v[2:3]
	v_add_f64 v[38:39], v[16:17], v[0:1]
	v_add_f64 v[6:7], v[6:7], v[22:23]
	;; [unrolled: 1-line block ×3, first 2 shown]
	v_fma_f64 v[34:35], v[26:27], s[4:5], v[28:29]
	v_fma_f64 v[36:37], v[24:25], s[4:5], v[30:31]
	;; [unrolled: 1-line block ×4, first 2 shown]
	v_add_f64 v[30:31], v[10:11], v[18:19]
	v_add_f64 v[28:29], v[16:17], -v[0:1]
	v_fma_f64 v[10:11], v[32:33], -0.5, v[10:11]
	v_fma_f64 v[8:9], v[38:39], -0.5, v[8:9]
	v_add_f64 v[14:15], v[14:15], v[0:1]
	v_mul_f64 v[16:17], v[34:35], -0.5
	v_mul_f64 v[18:19], v[36:37], s[6:7]
	v_mul_f64 v[32:33], v[26:27], s[4:5]
	v_mul_f64 v[38:39], v[24:25], -0.5
	v_add_f64 v[30:31], v[30:31], v[2:3]
	v_fma_f64 v[20:21], v[28:29], s[4:5], v[10:11]
	v_fma_f64 v[22:23], v[28:29], s[6:7], v[10:11]
	v_add_f64 v[0:1], v[14:15], -v[4:5]
	v_add_f64 v[4:5], v[14:15], v[4:5]
	v_fma_f64 v[16:17], v[24:25], s[6:7], v[16:17]
	v_fma_f64 v[24:25], v[26:27], 0.5, v[18:19]
	v_fma_f64 v[26:27], v[12:13], s[6:7], v[8:9]
	v_fma_f64 v[8:9], v[12:13], s[4:5], v[8:9]
	v_fma_f64 v[12:13], v[36:37], 0.5, v[32:33]
	v_fma_f64 v[28:29], v[34:35], s[4:5], v[38:39]
	v_add_f64 v[2:3], v[30:31], -v[6:7]
	v_add_f64 v[6:7], v[30:31], v[6:7]
	v_add_f64 v[10:11], v[20:21], -v[16:17]
	v_add_f64 v[14:15], v[22:23], -v[24:25]
	v_add_f64 v[18:19], v[20:21], v[16:17]
	v_add_f64 v[22:23], v[22:23], v[24:25]
	;; [unrolled: 1-line block ×4, first 2 shown]
	v_add_f64 v[12:13], v[8:9], -v[12:13]
	v_add_f64 v[8:9], v[26:27], -v[28:29]
	v_lshl_add_u32 v24, v50, 4, 0
	ds_write_b128 v24, v[4:7] offset:19584
	ds_write_b128 v24, v[0:3] offset:22032
	;; [unrolled: 1-line block ×6, first 2 shown]
.LBB0_19:
	s_or_b32 exec_lo, exec_lo, s1
	v_lshlrev_b32_e32 v72, 2, v78
	s_waitcnt lgkmcnt(0)
	s_barrier
	buffer_gl0_inv
	s_mov_b32 s14, 0x134454ff
	v_lshlrev_b64 v[0:1], 4, v[72:73]
	v_lshlrev_b32_e32 v72, 2, v75
	s_mov_b32 s15, 0x3fee6f0e
	s_mov_b32 s17, 0xbfee6f0e
	;; [unrolled: 1-line block ×4, first 2 shown]
	v_add_co_u32 v2, s1, s12, v0
	v_add_co_ci_u32_e64 v3, s1, s13, v1, s1
	v_lshlrev_b64 v[16:17], 4, v[72:73]
	v_add_co_u32 v0, s1, 0x1000, v2
	v_add_co_ci_u32_e64 v1, s1, 0, v3, s1
	v_add_co_u32 v12, s1, 0x1210, v2
	v_add_co_ci_u32_e64 v13, s1, 0, v3, s1
	v_add_co_u32 v18, s1, s12, v16
	v_lshlrev_b32_e32 v72, 2, v74
	v_add_co_ci_u32_e64 v19, s1, s13, v17, s1
	v_add_co_u32 v16, s1, 0x1000, v18
	v_lshlrev_b64 v[20:21], 4, v[72:73]
	v_add_co_ci_u32_e64 v17, s1, 0, v19, s1
	v_add_co_u32 v28, s1, 0x1210, v18
	v_add_co_ci_u32_e64 v29, s1, 0, v19, s1
	v_add_co_u32 v30, s1, s12, v20
	v_add_co_ci_u32_e64 v31, s1, s13, v21, s1
	s_clause 0x3
	global_load_dwordx4 v[0:3], v[0:1], off offset:528
	global_load_dwordx4 v[4:7], v[12:13], off offset:48
	global_load_dwordx4 v[8:11], v[12:13], off offset:32
	global_load_dwordx4 v[12:15], v[12:13], off offset:16
	v_add_co_u32 v32, s1, 0x1000, v30
	v_add_co_ci_u32_e64 v33, s1, 0, v31, s1
	v_add_co_u32 v44, s1, 0x1210, v30
	s_clause 0x2
	global_load_dwordx4 v[16:19], v[16:17], off offset:528
	global_load_dwordx4 v[20:23], v[28:29], off offset:32
	;; [unrolled: 1-line block ×3, first 2 shown]
	v_add_co_ci_u32_e64 v45, s1, 0, v31, s1
	s_clause 0x4
	global_load_dwordx4 v[28:31], v[28:29], off offset:48
	global_load_dwordx4 v[32:35], v[32:33], off offset:528
	;; [unrolled: 1-line block ×5, first 2 shown]
	ds_read_b128 v[48:51], v230 offset:4896
	ds_read_b128 v[52:55], v230 offset:14688
	ds_read_b128 v[56:59], v230
	ds_read_b128 v[60:63], v230 offset:1632
	ds_read_b128 v[64:67], v230 offset:9792
	;; [unrolled: 1-line block ×12, first 2 shown]
	s_mov_b32 s7, 0x3fe2cf23
	s_mov_b32 s9, 0xbfe2cf23
	;; [unrolled: 1-line block ×5, first 2 shown]
	s_waitcnt vmcnt(0) lgkmcnt(0)
	s_barrier
	buffer_gl0_inv
	v_mul_f64 v[114:115], v[50:51], v[2:3]
	v_mul_f64 v[2:3], v[48:49], v[2:3]
	;; [unrolled: 1-line block ×24, first 2 shown]
	v_fma_f64 v[48:49], v[48:49], v[0:1], -v[114:115]
	v_fma_f64 v[0:1], v[50:51], v[0:1], v[2:3]
	v_fma_f64 v[2:3], v[64:65], v[12:13], -v[116:117]
	v_fma_f64 v[12:13], v[66:67], v[12:13], v[14:15]
	;; [unrolled: 2-line block ×3, first 2 shown]
	v_fma_f64 v[8:9], v[54:55], v[8:9], v[10:11]
	v_fma_f64 v[4:5], v[72:73], v[4:5], -v[120:121]
	v_fma_f64 v[10:11], v[90:91], v[16:17], -v[122:123]
	v_fma_f64 v[16:17], v[92:93], v[16:17], v[18:19]
	v_fma_f64 v[18:19], v[68:69], v[24:25], -v[124:125]
	v_fma_f64 v[24:25], v[70:71], v[24:25], v[26:27]
	;; [unrolled: 2-line block ×8, first 2 shown]
	v_add_f64 v[46:47], v[56:57], v[48:49]
	v_add_f64 v[64:65], v[48:49], -v[2:3]
	v_add_f64 v[50:51], v[2:3], v[14:15]
	v_add_f64 v[74:75], v[58:59], v[0:1]
	;; [unrolled: 1-line block ×3, first 2 shown]
	v_add_f64 v[66:67], v[4:5], -v[14:15]
	v_add_f64 v[68:69], v[48:49], v[4:5]
	v_add_f64 v[94:95], v[0:1], v[6:7]
	v_add_f64 v[52:53], v[0:1], -v[6:7]
	v_add_f64 v[70:71], v[2:3], -v[48:49]
	;; [unrolled: 1-line block ×6, first 2 shown]
	v_add_f64 v[98:99], v[60:61], v[10:11]
	v_add_f64 v[100:101], v[18:19], v[26:27]
	;; [unrolled: 1-line block ×6, first 2 shown]
	v_add_f64 v[92:93], v[6:7], -v[8:9]
	v_add_f64 v[102:103], v[16:17], -v[28:29]
	v_add_f64 v[122:123], v[16:17], -v[24:25]
	v_add_f64 v[16:17], v[24:25], -v[16:17]
	v_add_f64 v[128:129], v[20:21], -v[28:29]
	v_add_f64 v[130:131], v[86:87], v[30:31]
	v_add_f64 v[132:133], v[34:35], v[38:39]
	;; [unrolled: 1-line block ×6, first 2 shown]
	v_add_f64 v[54:55], v[12:13], -v[8:9]
	v_add_f64 v[48:49], v[48:49], -v[4:5]
	;; [unrolled: 1-line block ×9, first 2 shown]
	v_add_f64 v[2:3], v[46:47], v[2:3]
	v_fma_f64 v[46:47], v[50:51], -0.5, v[56:57]
	v_add_f64 v[50:51], v[64:65], v[66:67]
	v_add_f64 v[12:13], v[74:75], v[12:13]
	v_fma_f64 v[66:67], v[82:83], -0.5, v[58:59]
	v_fma_f64 v[56:57], v[68:69], -0.5, v[56:57]
	;; [unrolled: 1-line block ×3, first 2 shown]
	v_add_f64 v[104:105], v[24:25], -v[20:21]
	v_add_f64 v[112:113], v[18:19], -v[10:11]
	v_add_f64 v[114:115], v[26:27], -v[22:23]
	v_add_f64 v[10:11], v[10:11], -v[22:23]
	v_add_f64 v[120:121], v[18:19], -v[26:27]
	v_add_f64 v[64:65], v[70:71], v[72:73]
	v_add_f64 v[70:71], v[0:1], v[96:97]
	;; [unrolled: 1-line block ×3, first 2 shown]
	v_fma_f64 v[18:19], v[100:101], -0.5, v[60:61]
	v_fma_f64 v[60:61], v[110:111], -0.5, v[60:61]
	v_add_f64 v[24:25], v[116:117], v[24:25]
	v_fma_f64 v[82:83], v[118:119], -0.5, v[62:63]
	v_fma_f64 v[62:63], v[126:127], -0.5, v[62:63]
	v_add_f64 v[136:137], v[36:37], -v[40:41]
	v_add_f64 v[138:139], v[30:31], -v[34:35]
	;; [unrolled: 1-line block ×5, first 2 shown]
	v_add_f64 v[68:69], v[90:91], v[92:93]
	v_add_f64 v[92:93], v[16:17], v[128:129]
	;; [unrolled: 1-line block ×3, first 2 shown]
	v_fma_f64 v[34:35], v[132:133], -0.5, v[86:87]
	v_fma_f64 v[86:87], v[142:143], -0.5, v[86:87]
	v_add_f64 v[36:37], v[148:149], v[36:37]
	v_fma_f64 v[98:99], v[150:151], -0.5, v[88:89]
	v_fma_f64 v[88:89], v[158:159], -0.5, v[88:89]
	v_add_f64 v[72:73], v[106:107], v[108:109]
	v_add_f64 v[106:107], v[32:33], v[160:161]
	;; [unrolled: 1-line block ×3, first 2 shown]
	v_fma_f64 v[14:15], v[52:53], s[14:15], v[46:47]
	v_fma_f64 v[32:33], v[52:53], s[16:17], v[46:47]
	v_add_f64 v[8:9], v[12:13], v[8:9]
	v_fma_f64 v[12:13], v[48:49], s[16:17], v[66:67]
	v_fma_f64 v[46:47], v[54:55], s[16:17], v[56:57]
	;; [unrolled: 1-line block ×6, first 2 shown]
	v_add_f64 v[124:125], v[28:29], -v[20:21]
	v_add_f64 v[74:75], v[112:113], v[114:115]
	v_fma_f64 v[110:111], v[102:103], s[14:15], v[18:19]
	v_fma_f64 v[18:19], v[102:103], s[16:17], v[18:19]
	;; [unrolled: 1-line block ×4, first 2 shown]
	v_add_f64 v[20:21], v[24:25], v[20:21]
	v_fma_f64 v[24:25], v[10:11], s[16:17], v[82:83]
	v_fma_f64 v[114:115], v[120:121], s[14:15], v[62:63]
	;; [unrolled: 1-line block ×4, first 2 shown]
	v_add_f64 v[140:141], v[42:43], -v[38:39]
	v_add_f64 v[146:147], v[38:39], -v[42:43]
	;; [unrolled: 1-line block ×3, first 2 shown]
	v_add_f64 v[16:17], v[16:17], v[38:39]
	v_fma_f64 v[38:39], v[134:135], s[14:15], v[34:35]
	v_fma_f64 v[116:117], v[136:137], s[16:17], v[86:87]
	v_add_f64 v[36:37], v[36:37], v[40:41]
	v_fma_f64 v[40:41], v[30:31], s[16:17], v[98:99]
	v_fma_f64 v[118:119], v[152:153], s[14:15], v[88:89]
	;; [unrolled: 1-line block ×6, first 2 shown]
	v_add_f64 v[26:27], v[0:1], v[26:27]
	v_fma_f64 v[14:15], v[54:55], s[6:7], v[14:15]
	v_fma_f64 v[32:33], v[54:55], s[8:9], v[32:33]
	;; [unrolled: 1-line block ×8, first 2 shown]
	v_add_f64 v[90:91], v[122:123], v[124:125]
	v_fma_f64 v[58:59], v[104:105], s[6:7], v[110:111]
	v_fma_f64 v[84:85], v[104:105], s[8:9], v[18:19]
	;; [unrolled: 1-line block ×8, first 2 shown]
	v_add_f64 v[94:95], v[138:139], v[140:141]
	v_add_f64 v[100:101], v[154:155], v[156:157]
	v_fma_f64 v[110:111], v[136:137], s[6:7], v[38:39]
	v_fma_f64 v[114:115], v[134:135], s[6:7], v[116:117]
	;; [unrolled: 1-line block ×3, first 2 shown]
	v_add_f64 v[96:97], v[144:145], v[146:147]
	v_fma_f64 v[118:119], v[30:31], s[8:9], v[118:119]
	v_fma_f64 v[86:87], v[134:135], s[8:9], v[86:87]
	;; [unrolled: 1-line block ×5, first 2 shown]
	v_add_f64 v[0:1], v[2:3], v[4:5]
	v_add_f64 v[2:3], v[8:9], v[6:7]
	;; [unrolled: 1-line block ×6, first 2 shown]
	v_fma_f64 v[12:13], v[50:51], s[4:5], v[14:15]
	v_fma_f64 v[14:15], v[68:69], s[4:5], v[54:55]
	;; [unrolled: 1-line block ×24, first 2 shown]
	ds_write_b128 v230, v[0:3]
	ds_write_b128 v230, v[4:7] offset:1632
	ds_write_b128 v230, v[8:11] offset:3264
	;; [unrolled: 1-line block ×14, first 2 shown]
	s_waitcnt lgkmcnt(0)
	s_barrier
	buffer_gl0_inv
	ds_read_b128 v[4:7], v230
	v_lshlrev_b32_e32 v0, 4, v78
	s_add_u32 s4, s12, 0x5e90
	s_addc_u32 s5, s13, 0
	s_mov_b32 s6, exec_lo
                                        ; implicit-def: $vgpr2_vgpr3
                                        ; implicit-def: $vgpr8_vgpr9
                                        ; implicit-def: $vgpr10_vgpr11
	v_sub_nc_u32_e32 v12, 0, v0
	v_cmpx_ne_u32_e32 0, v78
	s_xor_b32 s6, exec_lo, s6
	s_cbranch_execz .LBB0_21
; %bb.20:
	v_mov_b32_e32 v79, 0
	v_lshlrev_b64 v[0:1], 4, v[78:79]
	v_add_co_u32 v0, s1, s4, v0
	v_add_co_ci_u32_e64 v1, s1, s5, v1, s1
	global_load_dwordx4 v[13:16], v[0:1], off
	ds_read_b128 v[0:3], v12 offset:24480
	s_waitcnt lgkmcnt(0)
	v_add_f64 v[8:9], v[4:5], -v[0:1]
	v_add_f64 v[10:11], v[6:7], v[2:3]
	v_add_f64 v[2:3], v[6:7], -v[2:3]
	v_add_f64 v[0:1], v[4:5], v[0:1]
	v_mul_f64 v[6:7], v[8:9], 0.5
	v_mul_f64 v[4:5], v[10:11], 0.5
	;; [unrolled: 1-line block ×3, first 2 shown]
	s_waitcnt vmcnt(0)
	v_mul_f64 v[8:9], v[6:7], v[15:16]
	v_fma_f64 v[10:11], v[4:5], v[15:16], v[2:3]
	v_fma_f64 v[2:3], v[4:5], v[15:16], -v[2:3]
	v_fma_f64 v[17:18], v[0:1], 0.5, v[8:9]
	v_fma_f64 v[0:1], v[0:1], 0.5, -v[8:9]
	v_fma_f64 v[8:9], -v[13:14], v[6:7], v[10:11]
	v_mov_b32_e32 v10, v78
	v_fma_f64 v[2:3], -v[13:14], v[6:7], v[2:3]
	v_mov_b32_e32 v11, v79
	v_fma_f64 v[15:16], v[4:5], v[13:14], v[17:18]
	v_fma_f64 v[0:1], -v[4:5], v[13:14], v[0:1]
                                        ; implicit-def: $vgpr4_vgpr5
	ds_write_b64 v230, v[15:16]
.LBB0_21:
	s_andn2_saveexec_b32 s1, s6
	s_cbranch_execz .LBB0_23
; %bb.22:
	v_mov_b32_e32 v17, 0
	s_waitcnt lgkmcnt(0)
	v_add_f64 v[15:16], v[4:5], v[6:7]
	v_add_f64 v[0:1], v[4:5], -v[6:7]
	v_mov_b32_e32 v8, 0
	v_mov_b32_e32 v9, 0
	ds_read_b64 v[13:14], v17 offset:12248
	v_mov_b32_e32 v10, 0
	v_mov_b32_e32 v2, v8
	;; [unrolled: 1-line block ×4, first 2 shown]
	s_waitcnt lgkmcnt(0)
	v_xor_b32_e32 v14, 0x80000000, v14
	ds_write_b64 v230, v[15:16]
	ds_write_b64 v17, v[13:14] offset:12248
.LBB0_23:
	s_or_b32 exec_lo, exec_lo, s1
	s_waitcnt lgkmcnt(0)
	v_lshlrev_b64 v[4:5], 4, v[10:11]
	v_add_co_u32 v4, s1, s4, v4
	v_add_co_ci_u32_e64 v5, s1, s5, v5, s1
	v_add_co_u32 v6, s1, 0x800, v4
	global_load_dwordx4 v[13:16], v[4:5], off offset:1632
	v_add_co_ci_u32_e64 v7, s1, 0, v5, s1
	v_add_co_u32 v10, s1, 0x1000, v4
	v_add_co_ci_u32_e64 v11, s1, 0, v5, s1
	global_load_dwordx4 v[17:20], v[6:7], off offset:1216
	ds_write_b64 v230, v[8:9] offset:8
	ds_write_b128 v12, v[0:3] offset:24480
	ds_read_b128 v[0:3], v230 offset:1632
	ds_read_b128 v[6:9], v12 offset:22848
	global_load_dwordx4 v[21:24], v[10:11], off offset:800
	s_waitcnt lgkmcnt(0)
	v_add_f64 v[10:11], v[0:1], -v[6:7]
	v_add_f64 v[25:26], v[2:3], v[8:9]
	v_add_f64 v[2:3], v[2:3], -v[8:9]
	v_add_f64 v[0:1], v[0:1], v[6:7]
	v_mul_f64 v[8:9], v[10:11], 0.5
	v_mul_f64 v[10:11], v[25:26], 0.5
	;; [unrolled: 1-line block ×3, first 2 shown]
	s_waitcnt vmcnt(2)
	v_mul_f64 v[6:7], v[8:9], v[15:16]
	v_fma_f64 v[25:26], v[10:11], v[15:16], v[2:3]
	v_fma_f64 v[15:16], v[10:11], v[15:16], -v[2:3]
	v_fma_f64 v[27:28], v[0:1], 0.5, v[6:7]
	v_fma_f64 v[6:7], v[0:1], 0.5, -v[6:7]
	v_fma_f64 v[2:3], -v[13:14], v[8:9], v[25:26]
	v_fma_f64 v[8:9], -v[13:14], v[8:9], v[15:16]
	v_fma_f64 v[0:1], v[10:11], v[13:14], v[27:28]
	v_fma_f64 v[6:7], -v[10:11], v[13:14], v[6:7]
	v_add_co_u32 v10, s1, 0x1800, v4
	v_add_co_ci_u32_e64 v11, s1, 0, v5, s1
	ds_write_b128 v230, v[0:3] offset:1632
	ds_write_b128 v12, v[6:9] offset:22848
	ds_read_b128 v[0:3], v230 offset:3264
	ds_read_b128 v[6:9], v12 offset:21216
	global_load_dwordx4 v[13:16], v[10:11], off offset:384
	s_waitcnt lgkmcnt(0)
	v_add_f64 v[25:26], v[0:1], -v[6:7]
	v_add_f64 v[27:28], v[2:3], v[8:9]
	v_add_f64 v[2:3], v[2:3], -v[8:9]
	v_add_f64 v[0:1], v[0:1], v[6:7]
	v_mul_f64 v[8:9], v[25:26], 0.5
	v_mul_f64 v[25:26], v[27:28], 0.5
	v_mul_f64 v[2:3], v[2:3], 0.5
	s_waitcnt vmcnt(2)
	v_mul_f64 v[6:7], v[8:9], v[19:20]
	v_fma_f64 v[27:28], v[25:26], v[19:20], v[2:3]
	v_fma_f64 v[19:20], v[25:26], v[19:20], -v[2:3]
	v_fma_f64 v[29:30], v[0:1], 0.5, v[6:7]
	v_fma_f64 v[6:7], v[0:1], 0.5, -v[6:7]
	v_fma_f64 v[2:3], -v[17:18], v[8:9], v[27:28]
	v_fma_f64 v[8:9], -v[17:18], v[8:9], v[19:20]
	v_fma_f64 v[0:1], v[25:26], v[17:18], v[29:30]
	v_fma_f64 v[6:7], -v[25:26], v[17:18], v[6:7]
	ds_write_b128 v230, v[0:3] offset:3264
	ds_write_b128 v12, v[6:9] offset:21216
	ds_read_b128 v[0:3], v230 offset:4896
	ds_read_b128 v[6:9], v12 offset:19584
	global_load_dwordx4 v[17:20], v[10:11], off offset:2016
	s_waitcnt lgkmcnt(0)
	v_add_f64 v[10:11], v[0:1], -v[6:7]
	v_add_f64 v[25:26], v[2:3], v[8:9]
	v_add_f64 v[2:3], v[2:3], -v[8:9]
	v_add_f64 v[0:1], v[0:1], v[6:7]
	v_mul_f64 v[8:9], v[10:11], 0.5
	v_mul_f64 v[10:11], v[25:26], 0.5
	;; [unrolled: 1-line block ×3, first 2 shown]
	s_waitcnt vmcnt(2)
	v_mul_f64 v[6:7], v[8:9], v[23:24]
	v_fma_f64 v[25:26], v[10:11], v[23:24], v[2:3]
	v_fma_f64 v[23:24], v[10:11], v[23:24], -v[2:3]
	v_fma_f64 v[27:28], v[0:1], 0.5, v[6:7]
	v_fma_f64 v[6:7], v[0:1], 0.5, -v[6:7]
	v_fma_f64 v[2:3], -v[21:22], v[8:9], v[25:26]
	v_fma_f64 v[8:9], -v[21:22], v[8:9], v[23:24]
	v_fma_f64 v[0:1], v[10:11], v[21:22], v[27:28]
	v_fma_f64 v[6:7], -v[10:11], v[21:22], v[6:7]
	v_add_co_u32 v10, s1, 0x2000, v4
	v_add_co_ci_u32_e64 v11, s1, 0, v5, s1
	ds_write_b128 v230, v[0:3] offset:4896
	ds_write_b128 v12, v[6:9] offset:19584
	ds_read_b128 v[0:3], v230 offset:6528
	ds_read_b128 v[6:9], v12 offset:17952
	global_load_dwordx4 v[21:24], v[10:11], off offset:1600
	s_waitcnt lgkmcnt(0)
	v_add_f64 v[10:11], v[0:1], -v[6:7]
	v_add_f64 v[25:26], v[2:3], v[8:9]
	v_add_f64 v[2:3], v[2:3], -v[8:9]
	v_add_f64 v[0:1], v[0:1], v[6:7]
	v_mul_f64 v[8:9], v[10:11], 0.5
	v_mul_f64 v[10:11], v[25:26], 0.5
	;; [unrolled: 1-line block ×3, first 2 shown]
	s_waitcnt vmcnt(2)
	v_mul_f64 v[6:7], v[8:9], v[15:16]
	v_fma_f64 v[25:26], v[10:11], v[15:16], v[2:3]
	v_fma_f64 v[15:16], v[10:11], v[15:16], -v[2:3]
	v_fma_f64 v[27:28], v[0:1], 0.5, v[6:7]
	v_fma_f64 v[6:7], v[0:1], 0.5, -v[6:7]
	v_fma_f64 v[2:3], -v[13:14], v[8:9], v[25:26]
	v_fma_f64 v[8:9], -v[13:14], v[8:9], v[15:16]
	v_fma_f64 v[0:1], v[10:11], v[13:14], v[27:28]
	v_fma_f64 v[6:7], -v[10:11], v[13:14], v[6:7]
	ds_write_b128 v230, v[0:3] offset:6528
	ds_write_b128 v12, v[6:9] offset:17952
	ds_read_b128 v[0:3], v230 offset:8160
	ds_read_b128 v[6:9], v12 offset:16320
	s_waitcnt lgkmcnt(0)
	v_add_f64 v[10:11], v[0:1], -v[6:7]
	v_add_f64 v[13:14], v[2:3], v[8:9]
	v_add_f64 v[2:3], v[2:3], -v[8:9]
	v_add_f64 v[0:1], v[0:1], v[6:7]
	v_mul_f64 v[8:9], v[10:11], 0.5
	v_mul_f64 v[10:11], v[13:14], 0.5
	;; [unrolled: 1-line block ×3, first 2 shown]
	s_waitcnt vmcnt(1)
	v_mul_f64 v[6:7], v[8:9], v[19:20]
	v_fma_f64 v[13:14], v[10:11], v[19:20], v[2:3]
	v_fma_f64 v[15:16], v[10:11], v[19:20], -v[2:3]
	v_fma_f64 v[19:20], v[0:1], 0.5, v[6:7]
	v_fma_f64 v[6:7], v[0:1], 0.5, -v[6:7]
	v_fma_f64 v[2:3], -v[17:18], v[8:9], v[13:14]
	v_fma_f64 v[8:9], -v[17:18], v[8:9], v[15:16]
	v_fma_f64 v[0:1], v[10:11], v[17:18], v[19:20]
	v_fma_f64 v[6:7], -v[10:11], v[17:18], v[6:7]
	ds_write_b128 v230, v[0:3] offset:8160
	ds_write_b128 v12, v[6:9] offset:16320
	ds_read_b128 v[0:3], v230 offset:9792
	ds_read_b128 v[6:9], v12 offset:14688
	s_waitcnt lgkmcnt(0)
	v_add_f64 v[10:11], v[0:1], -v[6:7]
	v_add_f64 v[13:14], v[2:3], v[8:9]
	v_add_f64 v[2:3], v[2:3], -v[8:9]
	v_add_f64 v[0:1], v[0:1], v[6:7]
	v_mul_f64 v[8:9], v[10:11], 0.5
	v_mul_f64 v[10:11], v[13:14], 0.5
	;; [unrolled: 1-line block ×3, first 2 shown]
	s_waitcnt vmcnt(0)
	v_mul_f64 v[6:7], v[8:9], v[23:24]
	v_fma_f64 v[13:14], v[10:11], v[23:24], v[2:3]
	v_fma_f64 v[15:16], v[10:11], v[23:24], -v[2:3]
	v_fma_f64 v[17:18], v[0:1], 0.5, v[6:7]
	v_fma_f64 v[6:7], v[0:1], 0.5, -v[6:7]
	v_fma_f64 v[2:3], -v[21:22], v[8:9], v[13:14]
	v_fma_f64 v[8:9], -v[21:22], v[8:9], v[15:16]
	v_fma_f64 v[0:1], v[10:11], v[21:22], v[17:18]
	v_fma_f64 v[6:7], -v[10:11], v[21:22], v[6:7]
	ds_write_b128 v230, v[0:3] offset:9792
	ds_write_b128 v12, v[6:9] offset:14688
	s_and_saveexec_b32 s1, s0
	s_cbranch_execz .LBB0_25
; %bb.24:
	v_add_co_u32 v0, s0, 0x2800, v4
	v_add_co_ci_u32_e64 v1, s0, 0, v5, s0
	global_load_dwordx4 v[0:3], v[0:1], off offset:1184
	ds_read_b128 v[4:7], v230 offset:11424
	ds_read_b128 v[8:11], v12 offset:13056
	s_waitcnt lgkmcnt(0)
	v_add_f64 v[13:14], v[4:5], -v[8:9]
	v_add_f64 v[15:16], v[6:7], v[10:11]
	v_add_f64 v[6:7], v[6:7], -v[10:11]
	v_add_f64 v[4:5], v[4:5], v[8:9]
	v_mul_f64 v[10:11], v[13:14], 0.5
	v_mul_f64 v[13:14], v[15:16], 0.5
	;; [unrolled: 1-line block ×3, first 2 shown]
	s_waitcnt vmcnt(0)
	v_mul_f64 v[8:9], v[10:11], v[2:3]
	v_fma_f64 v[15:16], v[13:14], v[2:3], v[6:7]
	v_fma_f64 v[2:3], v[13:14], v[2:3], -v[6:7]
	v_fma_f64 v[6:7], v[4:5], 0.5, v[8:9]
	v_fma_f64 v[17:18], v[4:5], 0.5, -v[8:9]
	v_fma_f64 v[4:5], -v[0:1], v[10:11], v[15:16]
	v_fma_f64 v[8:9], -v[0:1], v[10:11], v[2:3]
	v_fma_f64 v[2:3], v[13:14], v[0:1], v[6:7]
	v_fma_f64 v[6:7], -v[13:14], v[0:1], v[17:18]
	ds_write_b128 v230, v[2:5] offset:11424
	ds_write_b128 v12, v[6:9] offset:13056
.LBB0_25:
	s_or_b32 exec_lo, exec_lo, s1
	s_waitcnt lgkmcnt(0)
	s_barrier
	buffer_gl0_inv
	s_and_saveexec_b32 s0, vcc_lo
	s_cbranch_execz .LBB0_28
; %bb.26:
	v_mul_lo_u32 v2, s3, v80
	v_mul_lo_u32 v3, s2, v81
	v_mad_u64_u32 v[0:1], null, s2, v80, 0
	v_lshl_add_u32 v32, v78, 4, 0
	v_mov_b32_e32 v79, 0
	v_lshlrev_b64 v[10:11], 4, v[76:77]
	v_add_nc_u32_e32 v14, 0x66, v78
	v_add_nc_u32_e32 v16, 0xcc, v78
	;; [unrolled: 1-line block ×3, first 2 shown]
	v_add3_u32 v1, v1, v3, v2
	ds_read_b128 v[2:5], v32
	ds_read_b128 v[6:9], v32 offset:1632
	v_lshlrev_b64 v[18:19], 4, v[78:79]
	v_mov_b32_e32 v15, v79
	v_mov_b32_e32 v17, v79
	v_lshlrev_b64 v[0:1], 4, v[0:1]
	v_mov_b32_e32 v27, v79
	v_add_nc_u32_e32 v30, 0x2ca, v78
	v_lshlrev_b64 v[14:15], 4, v[14:15]
	v_lshlrev_b64 v[16:17], 4, v[16:17]
	v_mov_b32_e32 v31, v79
	v_add_co_u32 v0, vcc_lo, s10, v0
	v_add_co_ci_u32_e32 v1, vcc_lo, s11, v1, vcc_lo
	v_lshlrev_b64 v[26:27], 4, v[26:27]
	v_add_co_u32 v0, vcc_lo, v0, v10
	v_add_co_ci_u32_e32 v1, vcc_lo, v1, v11, vcc_lo
	ds_read_b128 v[10:13], v32 offset:3264
	v_add_co_u32 v18, vcc_lo, v0, v18
	v_add_co_ci_u32_e32 v19, vcc_lo, v1, v19, vcc_lo
	s_waitcnt lgkmcnt(2)
	global_store_dwordx4 v[18:19], v[2:5], off
	v_add_co_u32 v2, vcc_lo, v0, v14
	v_add_co_ci_u32_e32 v3, vcc_lo, v1, v15, vcc_lo
	v_add_co_u32 v14, vcc_lo, v0, v16
	v_add_co_ci_u32_e32 v15, vcc_lo, v1, v17, vcc_lo
	v_add_nc_u32_e32 v16, 0x132, v78
	v_mov_b32_e32 v17, v79
	v_add_nc_u32_e32 v18, 0x198, v78
	v_mov_b32_e32 v19, v79
	s_waitcnt lgkmcnt(1)
	global_store_dwordx4 v[2:3], v[6:9], off
	ds_read_b128 v[2:5], v32 offset:4896
	s_waitcnt lgkmcnt(1)
	global_store_dwordx4 v[14:15], v[10:13], off
	v_lshlrev_b64 v[14:15], 4, v[16:17]
	v_lshlrev_b64 v[16:17], 4, v[18:19]
	v_add_nc_u32_e32 v18, 0x1fe, v78
	ds_read_b128 v[6:9], v32 offset:6528
	ds_read_b128 v[10:13], v32 offset:8160
	v_add_co_u32 v22, vcc_lo, v0, v14
	v_lshlrev_b64 v[18:19], 4, v[18:19]
	v_add_co_ci_u32_e32 v23, vcc_lo, v1, v15, vcc_lo
	v_add_co_u32 v24, vcc_lo, v0, v16
	v_add_co_ci_u32_e32 v25, vcc_lo, v1, v17, vcc_lo
	v_add_co_u32 v28, vcc_lo, v0, v18
	ds_read_b128 v[14:17], v32 offset:9792
	v_add_co_ci_u32_e32 v29, vcc_lo, v1, v19, vcc_lo
	ds_read_b128 v[18:21], v32 offset:11424
	s_waitcnt lgkmcnt(4)
	global_store_dwordx4 v[22:23], v[2:5], off
	s_waitcnt lgkmcnt(3)
	global_store_dwordx4 v[24:25], v[6:9], off
	s_waitcnt lgkmcnt(2)
	global_store_dwordx4 v[28:29], v[10:13], off
	v_lshlrev_b64 v[2:3], 4, v[30:31]
	v_add_co_u32 v4, vcc_lo, v0, v26
	v_add_co_ci_u32_e32 v5, vcc_lo, v1, v27, vcc_lo
	v_add_nc_u32_e32 v6, 0x330, v78
	v_add_co_u32 v2, vcc_lo, v0, v2
	v_add_co_ci_u32_e32 v3, vcc_lo, v1, v3, vcc_lo
	v_mov_b32_e32 v7, v79
	v_add_nc_u32_e32 v10, 0x396, v78
	v_mov_b32_e32 v11, v79
	s_waitcnt lgkmcnt(1)
	global_store_dwordx4 v[4:5], v[14:17], off
	v_add_nc_u32_e32 v24, 0x594, v78
	v_lshlrev_b64 v[14:15], 4, v[6:7]
	s_waitcnt lgkmcnt(0)
	global_store_dwordx4 v[2:3], v[18:21], off
	ds_read_b128 v[2:5], v32 offset:13056
	ds_read_b128 v[6:9], v32 offset:14688
	v_lshlrev_b64 v[16:17], 4, v[10:11]
	ds_read_b128 v[10:13], v32 offset:16320
	v_add_nc_u32_e32 v18, 0x3fc, v78
	v_mov_b32_e32 v19, v79
	v_add_co_u32 v14, vcc_lo, v0, v14
	v_add_co_ci_u32_e32 v15, vcc_lo, v1, v15, vcc_lo
	v_lshlrev_b64 v[18:19], 4, v[18:19]
	v_add_co_u32 v16, vcc_lo, v0, v16
	v_add_nc_u32_e32 v20, 0x462, v78
	v_mov_b32_e32 v21, v79
	v_add_co_ci_u32_e32 v17, vcc_lo, v1, v17, vcc_lo
	v_add_co_u32 v18, vcc_lo, v0, v18
	s_waitcnt lgkmcnt(2)
	global_store_dwordx4 v[14:15], v[2:5], off
	s_waitcnt lgkmcnt(1)
	global_store_dwordx4 v[16:17], v[6:9], off
	v_lshlrev_b64 v[6:7], 4, v[20:21]
	v_add_co_ci_u32_e32 v19, vcc_lo, v1, v19, vcc_lo
	v_add_nc_u32_e32 v8, 0x4c8, v78
	v_mov_b32_e32 v9, v79
	v_add_nc_u32_e32 v14, 0x52e, v78
	s_waitcnt lgkmcnt(0)
	global_store_dwordx4 v[18:19], v[10:13], off
	v_mov_b32_e32 v15, v79
	v_add_co_u32 v18, vcc_lo, v0, v6
	ds_read_b128 v[2:5], v32 offset:17952
	v_add_co_ci_u32_e32 v19, vcc_lo, v1, v7, vcc_lo
	v_lshlrev_b64 v[20:21], 4, v[8:9]
	ds_read_b128 v[6:9], v32 offset:19584
	ds_read_b128 v[10:13], v32 offset:21216
	v_mov_b32_e32 v25, v79
	v_lshlrev_b64 v[22:23], 4, v[14:15]
	ds_read_b128 v[14:17], v32 offset:22848
	v_add_co_u32 v20, vcc_lo, v0, v20
	v_lshlrev_b64 v[24:25], 4, v[24:25]
	v_add_co_ci_u32_e32 v21, vcc_lo, v1, v21, vcc_lo
	v_add_co_u32 v22, vcc_lo, v0, v22
	v_add_co_ci_u32_e32 v23, vcc_lo, v1, v23, vcc_lo
	v_add_co_u32 v24, vcc_lo, v0, v24
	v_add_co_ci_u32_e32 v25, vcc_lo, v1, v25, vcc_lo
	v_cmp_eq_u32_e32 vcc_lo, 0x65, v78
	s_waitcnt lgkmcnt(3)
	global_store_dwordx4 v[18:19], v[2:5], off
	s_waitcnt lgkmcnt(2)
	global_store_dwordx4 v[20:21], v[6:9], off
	;; [unrolled: 2-line block ×4, first 2 shown]
	s_and_b32 exec_lo, exec_lo, vcc_lo
	s_cbranch_execz .LBB0_28
; %bb.27:
	ds_read_b128 v[2:5], v79 offset:24480
	v_add_co_u32 v0, vcc_lo, 0x5800, v0
	v_add_co_ci_u32_e32 v1, vcc_lo, 0, v1, vcc_lo
	s_waitcnt lgkmcnt(0)
	global_store_dwordx4 v[0:1], v[2:5], off offset:1952
.LBB0_28:
	s_endpgm
	.section	.rodata,"a",@progbits
	.p2align	6, 0x0
	.amdhsa_kernel fft_rtc_fwd_len1530_factors_17_3_6_5_wgs_102_tpt_102_halfLds_dp_op_CI_CI_unitstride_sbrr_R2C_dirReg
		.amdhsa_group_segment_fixed_size 0
		.amdhsa_private_segment_fixed_size 20
		.amdhsa_kernarg_size 104
		.amdhsa_user_sgpr_count 6
		.amdhsa_user_sgpr_private_segment_buffer 1
		.amdhsa_user_sgpr_dispatch_ptr 0
		.amdhsa_user_sgpr_queue_ptr 0
		.amdhsa_user_sgpr_kernarg_segment_ptr 1
		.amdhsa_user_sgpr_dispatch_id 0
		.amdhsa_user_sgpr_flat_scratch_init 0
		.amdhsa_user_sgpr_private_segment_size 0
		.amdhsa_wavefront_size32 1
		.amdhsa_uses_dynamic_stack 0
		.amdhsa_system_sgpr_private_segment_wavefront_offset 1
		.amdhsa_system_sgpr_workgroup_id_x 1
		.amdhsa_system_sgpr_workgroup_id_y 0
		.amdhsa_system_sgpr_workgroup_id_z 0
		.amdhsa_system_sgpr_workgroup_info 0
		.amdhsa_system_vgpr_workitem_id 0
		.amdhsa_next_free_vgpr 255
		.amdhsa_next_free_sgpr 60
		.amdhsa_reserve_vcc 1
		.amdhsa_reserve_flat_scratch 0
		.amdhsa_float_round_mode_32 0
		.amdhsa_float_round_mode_16_64 0
		.amdhsa_float_denorm_mode_32 3
		.amdhsa_float_denorm_mode_16_64 3
		.amdhsa_dx10_clamp 1
		.amdhsa_ieee_mode 1
		.amdhsa_fp16_overflow 0
		.amdhsa_workgroup_processor_mode 1
		.amdhsa_memory_ordered 1
		.amdhsa_forward_progress 0
		.amdhsa_shared_vgpr_count 0
		.amdhsa_exception_fp_ieee_invalid_op 0
		.amdhsa_exception_fp_denorm_src 0
		.amdhsa_exception_fp_ieee_div_zero 0
		.amdhsa_exception_fp_ieee_overflow 0
		.amdhsa_exception_fp_ieee_underflow 0
		.amdhsa_exception_fp_ieee_inexact 0
		.amdhsa_exception_int_div_zero 0
	.end_amdhsa_kernel
	.text
.Lfunc_end0:
	.size	fft_rtc_fwd_len1530_factors_17_3_6_5_wgs_102_tpt_102_halfLds_dp_op_CI_CI_unitstride_sbrr_R2C_dirReg, .Lfunc_end0-fft_rtc_fwd_len1530_factors_17_3_6_5_wgs_102_tpt_102_halfLds_dp_op_CI_CI_unitstride_sbrr_R2C_dirReg
                                        ; -- End function
	.section	.AMDGPU.csdata,"",@progbits
; Kernel info:
; codeLenInByte = 17736
; NumSgprs: 62
; NumVgprs: 255
; ScratchSize: 20
; MemoryBound: 0
; FloatMode: 240
; IeeeMode: 1
; LDSByteSize: 0 bytes/workgroup (compile time only)
; SGPRBlocks: 7
; VGPRBlocks: 31
; NumSGPRsForWavesPerEU: 62
; NumVGPRsForWavesPerEU: 255
; Occupancy: 4
; WaveLimiterHint : 1
; COMPUTE_PGM_RSRC2:SCRATCH_EN: 1
; COMPUTE_PGM_RSRC2:USER_SGPR: 6
; COMPUTE_PGM_RSRC2:TRAP_HANDLER: 0
; COMPUTE_PGM_RSRC2:TGID_X_EN: 1
; COMPUTE_PGM_RSRC2:TGID_Y_EN: 0
; COMPUTE_PGM_RSRC2:TGID_Z_EN: 0
; COMPUTE_PGM_RSRC2:TIDIG_COMP_CNT: 0
	.text
	.p2alignl 6, 3214868480
	.fill 48, 4, 3214868480
	.type	__hip_cuid_440cc17e01e38222,@object ; @__hip_cuid_440cc17e01e38222
	.section	.bss,"aw",@nobits
	.globl	__hip_cuid_440cc17e01e38222
__hip_cuid_440cc17e01e38222:
	.byte	0                               ; 0x0
	.size	__hip_cuid_440cc17e01e38222, 1

	.ident	"AMD clang version 19.0.0git (https://github.com/RadeonOpenCompute/llvm-project roc-6.4.0 25133 c7fe45cf4b819c5991fe208aaa96edf142730f1d)"
	.section	".note.GNU-stack","",@progbits
	.addrsig
	.addrsig_sym __hip_cuid_440cc17e01e38222
	.amdgpu_metadata
---
amdhsa.kernels:
  - .args:
      - .actual_access:  read_only
        .address_space:  global
        .offset:         0
        .size:           8
        .value_kind:     global_buffer
      - .offset:         8
        .size:           8
        .value_kind:     by_value
      - .actual_access:  read_only
        .address_space:  global
        .offset:         16
        .size:           8
        .value_kind:     global_buffer
      - .actual_access:  read_only
        .address_space:  global
        .offset:         24
        .size:           8
        .value_kind:     global_buffer
      - .actual_access:  read_only
        .address_space:  global
        .offset:         32
        .size:           8
        .value_kind:     global_buffer
      - .offset:         40
        .size:           8
        .value_kind:     by_value
      - .actual_access:  read_only
        .address_space:  global
        .offset:         48
        .size:           8
        .value_kind:     global_buffer
      - .actual_access:  read_only
        .address_space:  global
        .offset:         56
        .size:           8
        .value_kind:     global_buffer
      - .offset:         64
        .size:           4
        .value_kind:     by_value
      - .actual_access:  read_only
        .address_space:  global
        .offset:         72
        .size:           8
        .value_kind:     global_buffer
      - .actual_access:  read_only
        .address_space:  global
        .offset:         80
        .size:           8
        .value_kind:     global_buffer
      - .actual_access:  read_only
        .address_space:  global
        .offset:         88
        .size:           8
        .value_kind:     global_buffer
      - .actual_access:  write_only
        .address_space:  global
        .offset:         96
        .size:           8
        .value_kind:     global_buffer
    .group_segment_fixed_size: 0
    .kernarg_segment_align: 8
    .kernarg_segment_size: 104
    .language:       OpenCL C
    .language_version:
      - 2
      - 0
    .max_flat_workgroup_size: 102
    .name:           fft_rtc_fwd_len1530_factors_17_3_6_5_wgs_102_tpt_102_halfLds_dp_op_CI_CI_unitstride_sbrr_R2C_dirReg
    .private_segment_fixed_size: 20
    .sgpr_count:     62
    .sgpr_spill_count: 0
    .symbol:         fft_rtc_fwd_len1530_factors_17_3_6_5_wgs_102_tpt_102_halfLds_dp_op_CI_CI_unitstride_sbrr_R2C_dirReg.kd
    .uniform_work_group_size: 1
    .uses_dynamic_stack: false
    .vgpr_count:     255
    .vgpr_spill_count: 4
    .wavefront_size: 32
    .workgroup_processor_mode: 1
amdhsa.target:   amdgcn-amd-amdhsa--gfx1030
amdhsa.version:
  - 1
  - 2
...

	.end_amdgpu_metadata
